;; amdgpu-corpus repo=zjin-lcf/HeCBench kind=compiled arch=gfx1100 opt=O3
	.text
	.amdgcn_target "amdgcn-amd-amdhsa--gfx1100"
	.amdhsa_code_object_version 6
	.section	.text._Z20test_interval_newtonIdEvP12interval_gpuIT_EPiS2_i,"axG",@progbits,_Z20test_interval_newtonIdEvP12interval_gpuIT_EPiS2_i,comdat
	.protected	_Z20test_interval_newtonIdEvP12interval_gpuIT_EPiS2_i ; -- Begin function _Z20test_interval_newtonIdEvP12interval_gpuIT_EPiS2_i
	.globl	_Z20test_interval_newtonIdEvP12interval_gpuIT_EPiS2_i
	.p2align	8
	.type	_Z20test_interval_newtonIdEvP12interval_gpuIT_EPiS2_i,@function
_Z20test_interval_newtonIdEvP12interval_gpuIT_EPiS2_i: ; @_Z20test_interval_newtonIdEvP12interval_gpuIT_EPiS2_i
; %bb.0:
	s_clause 0x1
	s_load_b32 s19, s[0:1], 0x20
	s_load_b256 s[4:11], s[0:1], 0x0
	v_lshl_add_u32 v12, s15, 6, v0
	s_mov_b32 s18, 0
	s_waitcnt lgkmcnt(0)
	s_cmp_lt_i32 s19, 1
	s_cbranch_scc1 .LBB0_96
; %bb.1:
	s_cmp_eq_u32 s19, 1
	s_cbranch_scc0 .LBB0_97
; %bb.2:
	v_cvt_f64_i32_e32 v[0:1], v12
	v_mov_b32_e32 v33, -1
	v_add_nc_u32_e64 v32, 0, 16
	v_mov_b32_e32 v31, v12
	v_mov_b32_e32 v17, v12
	s_brev_b32 s2, 5
	s_brev_b32 s12, 1
	s_mov_b32 s14, 0
	s_mov_b32 s3, 0x3eb0c6f7
	;; [unrolled: 1-line block ×5, first 2 shown]
	v_dual_mov_b32 v2, s10 :: v_dual_mov_b32 v3, s11
	v_ldexp_f64 v[13:14], -v[0:1], -16
	v_fma_f64 v[15:16], 0xbef00000, v[0:1], -2.0
	v_dual_mov_b32 v0, s8 :: v_dual_mov_b32 v1, s9
	s_branch .LBB0_6
.LBB0_3:                                ;   in Loop: Header=BB0_6 Depth=1
	s_or_b32 exec_lo, exec_lo, s21
	s_waitcnt vmcnt(0)
	v_dual_mov_b32 v7, v3 :: v_dual_mov_b32 v6, v2
	v_dual_mov_b32 v5, v1 :: v_dual_mov_b32 v4, v0
	v_mov_b32_e32 v33, v8
	s_or_not1_b32 s17, s17, exec_lo
.LBB0_4:                                ;   in Loop: Header=BB0_6 Depth=1
	s_or_b32 exec_lo, exec_lo, s16
	s_delay_alu instid0(VALU_DEP_2) | instskip(SKIP_3) | instid1(SALU_CYCLE_1)
	v_dual_mov_b32 v9, v5 :: v_dual_mov_b32 v8, v4
	v_dual_mov_b32 v11, v7 :: v_dual_mov_b32 v10, v6
	s_and_not1_b32 s1, s1, exec_lo
	s_and_b32 s16, s17, exec_lo
	s_or_b32 s1, s1, s16
.LBB0_5:                                ;   in Loop: Header=BB0_6 Depth=1
	s_or_b32 exec_lo, exec_lo, s0
	s_xor_b32 s0, s1, -1
	v_dual_mov_b32 v0, v8 :: v_dual_mov_b32 v1, v9
	v_dual_mov_b32 v2, v10 :: v_dual_mov_b32 v3, v11
	s_and_b32 s0, exec_lo, s0
	s_delay_alu instid0(SALU_CYCLE_1) | instskip(NEXT) | instid1(SALU_CYCLE_1)
	s_or_b32 s20, s0, s20
	s_and_not1_b32 exec_lo, exec_lo, s20
	s_cbranch_execz .LBB0_98
.LBB0_6:                                ; =>This Inner Loop Header: Depth=1
	s_delay_alu instid0(VALU_DEP_1) | instskip(SKIP_1) | instid1(VALU_DEP_1)
	v_add_f64 v[21:22], v[0:1], v[2:3]
	s_mov_b32 s0, exec_lo
                                        ; implicit-def: $vgpr4_vgpr5
	v_fma_f64 v[8:9], v[21:22], 0.5, -1.0
	s_delay_alu instid0(VALU_DEP_1)
	v_mul_f64 v[6:7], v[8:9], v[8:9]
	v_cmpx_le_f64_e32 0, v[8:9]
	s_xor_b32 s0, exec_lo, s0
; %bb.7:                                ;   in Loop: Header=BB0_6 Depth=1
	v_mul_f64 v[4:5], v[8:9], v[8:9]
                                        ; implicit-def: $vgpr8_vgpr9
                                        ; implicit-def: $vgpr6_vgpr7
; %bb.8:                                ;   in Loop: Header=BB0_6 Depth=1
	s_or_saveexec_b32 s0, s0
	s_delay_alu instid0(VALU_DEP_1)
	v_dual_mov_b32 v11, v5 :: v_dual_mov_b32 v10, v4
	s_xor_b32 exec_lo, exec_lo, s0
; %bb.9:                                ;   in Loop: Header=BB0_6 Depth=1
	v_cmp_ge_f64_e32 vcc_lo, 0, v[8:9]
	v_dual_mov_b32 v11, v7 :: v_dual_mov_b32 v10, v6
	v_dual_cndmask_b32 v5, 0, v7 :: v_dual_cndmask_b32 v4, 0, v6
; %bb.10:                               ;   in Loop: Header=BB0_6 Depth=1
	s_or_b32 exec_lo, exec_lo, s0
	v_add_f64 v[6:7], v[0:1], v[0:1]
	v_add_f64 v[8:9], v[2:3], v[2:3]
                                        ; implicit-def: $sgpr1
                                        ; implicit-def: $vgpr29_vgpr30
                                        ; implicit-def: $vgpr27_vgpr28
	s_delay_alu instid0(VALU_DEP_1) | instskip(SKIP_1) | instid1(VALU_DEP_2)
	v_min_f64 v[18:19], v[6:7], v[8:9]
	v_max_f64 v[6:7], v[6:7], v[8:9]
	v_add_f64 v[8:9], v[15:16], v[18:19]
	s_delay_alu instid0(VALU_DEP_2) | instskip(SKIP_1) | instid1(VALU_DEP_3)
	v_add_f64 v[23:24], v[15:16], v[6:7]
	v_mul_f64 v[19:20], v[21:22], 0.5
	v_cmp_ge_f64_e32 vcc_lo, 0, v[8:9]
	s_delay_alu instid0(VALU_DEP_3) | instskip(NEXT) | instid1(VALU_DEP_3)
	v_cmp_le_f64_e64 s0, 0, v[23:24]
	v_fma_f64 v[25:26], v[13:14], v[19:20], v[4:5]
	v_fma_f64 v[10:11], v[13:14], v[19:20], v[10:11]
	s_delay_alu instid0(VALU_DEP_3) | instskip(NEXT) | instid1(SALU_CYCLE_1)
	s_and_b32 s0, vcc_lo, s0
	s_and_saveexec_b32 s16, s0
	s_delay_alu instid0(SALU_CYCLE_1)
	s_xor_b32 s21, exec_lo, s16
	s_cbranch_execz .LBB0_46
; %bb.11:                               ;   in Loop: Header=BB0_6 Depth=1
	v_cmp_neq_f64_e32 vcc_lo, 0, v[23:24]
	v_cmp_eq_f64_e64 s0, 0, v[23:24]
                                        ; implicit-def: $vgpr29_vgpr30
                                        ; implicit-def: $vgpr27_vgpr28
                                        ; implicit-def: $sgpr16
	s_mov_b32 s17, exec_lo
	v_cmpx_eq_f64_e32 0, v[8:9]
	s_xor_b32 s22, exec_lo, s17
	s_cbranch_execz .LBB0_23
; %bb.12:                               ;   in Loop: Header=BB0_6 Depth=1
	s_mov_b32 s16, 0
	s_mov_b32 s17, 0x7ff80000
	v_mov_b32_e32 v29, s16
	v_dual_mov_b32 v30, s17 :: v_dual_mov_b32 v27, s16
	v_mov_b32_e32 v28, s17
	s_and_saveexec_b32 s23, vcc_lo
	s_cbranch_execz .LBB0_22
; %bb.13:                               ;   in Loop: Header=BB0_6 Depth=1
	v_cmp_neq_f64_e32 vcc_lo, 0, v[25:26]
	v_cmp_neq_f64_e64 s1, 0, v[10:11]
	v_dual_mov_b32 v30, v26 :: v_dual_mov_b32 v29, v25
	v_dual_mov_b32 v28, v11 :: v_dual_mov_b32 v27, v10
	s_delay_alu instid0(VALU_DEP_3) | instskip(NEXT) | instid1(SALU_CYCLE_1)
	s_or_b32 s16, vcc_lo, s1
	s_and_saveexec_b32 s1, s16
	s_cbranch_execz .LBB0_21
; %bb.14:                               ;   in Loop: Header=BB0_6 Depth=1
	s_mov_b32 s24, exec_lo
                                        ; implicit-def: $sgpr16_sgpr17
                                        ; implicit-def: $vgpr29_vgpr30
	v_cmpx_ngt_f64_e32 0, v[10:11]
	s_xor_b32 s24, exec_lo, s24
	s_cbranch_execz .LBB0_18
; %bb.15:                               ;   in Loop: Header=BB0_6 Depth=1
	v_mov_b32_e32 v29, 0
	v_mov_b32_e32 v30, 0xfff00000
	s_mov_b32 s16, exec_lo
	v_cmpx_ngt_f64_e32 0, v[25:26]
; %bb.16:                               ;   in Loop: Header=BB0_6 Depth=1
	v_div_scale_f64 v[4:5], null, v[23:24], v[23:24], v[25:26]
	s_delay_alu instid0(VALU_DEP_1) | instskip(SKIP_2) | instid1(VALU_DEP_1)
	v_rcp_f64_e32 v[6:7], v[4:5]
	s_waitcnt_depctr 0xfff
	v_fma_f64 v[27:28], -v[4:5], v[6:7], 1.0
	v_fma_f64 v[6:7], v[6:7], v[27:28], v[6:7]
	s_delay_alu instid0(VALU_DEP_1) | instskip(NEXT) | instid1(VALU_DEP_1)
	v_fma_f64 v[27:28], -v[4:5], v[6:7], 1.0
	v_fma_f64 v[6:7], v[6:7], v[27:28], v[6:7]
	v_div_scale_f64 v[27:28], vcc_lo, v[25:26], v[23:24], v[25:26]
	s_delay_alu instid0(VALU_DEP_1) | instskip(NEXT) | instid1(VALU_DEP_1)
	v_mul_f64 v[29:30], v[27:28], v[6:7]
	v_fma_f64 v[4:5], -v[4:5], v[29:30], v[27:28]
	s_delay_alu instid0(VALU_DEP_1) | instskip(NEXT) | instid1(VALU_DEP_1)
	v_div_fmas_f64 v[4:5], v[4:5], v[6:7], v[29:30]
	v_div_fixup_f64 v[29:30], v[4:5], v[23:24], v[25:26]
; %bb.17:                               ;   in Loop: Header=BB0_6 Depth=1
	s_or_b32 exec_lo, exec_lo, s16
	s_mov_b32 s16, 0
	s_mov_b32 s17, 0x7ff00000
.LBB0_18:                               ;   in Loop: Header=BB0_6 Depth=1
	s_or_saveexec_b32 s24, s24
	v_dual_mov_b32 v28, s17 :: v_dual_mov_b32 v27, s16
	s_xor_b32 exec_lo, exec_lo, s24
	s_cbranch_execz .LBB0_20
; %bb.19:                               ;   in Loop: Header=BB0_6 Depth=1
	v_div_scale_f64 v[4:5], null, v[23:24], v[23:24], v[10:11]
	s_delay_alu instid0(VALU_DEP_1) | instskip(SKIP_2) | instid1(VALU_DEP_1)
	v_rcp_f64_e32 v[6:7], v[4:5]
	s_waitcnt_depctr 0xfff
	v_fma_f64 v[27:28], -v[4:5], v[6:7], 1.0
	v_fma_f64 v[6:7], v[6:7], v[27:28], v[6:7]
	s_delay_alu instid0(VALU_DEP_1) | instskip(NEXT) | instid1(VALU_DEP_1)
	v_fma_f64 v[27:28], -v[4:5], v[6:7], 1.0
	v_fma_f64 v[6:7], v[6:7], v[27:28], v[6:7]
	v_div_scale_f64 v[27:28], vcc_lo, v[10:11], v[23:24], v[10:11]
	s_delay_alu instid0(VALU_DEP_1) | instskip(NEXT) | instid1(VALU_DEP_1)
	v_mul_f64 v[29:30], v[27:28], v[6:7]
	v_fma_f64 v[4:5], -v[4:5], v[29:30], v[27:28]
	s_delay_alu instid0(VALU_DEP_1) | instskip(SKIP_2) | instid1(VALU_DEP_3)
	v_div_fmas_f64 v[4:5], v[4:5], v[6:7], v[29:30]
	v_mov_b32_e32 v29, 0
	v_mov_b32_e32 v30, 0xfff00000
	v_div_fixup_f64 v[27:28], v[4:5], v[23:24], v[10:11]
.LBB0_20:                               ;   in Loop: Header=BB0_6 Depth=1
	s_or_b32 exec_lo, exec_lo, s24
.LBB0_21:                               ;   in Loop: Header=BB0_6 Depth=1
	s_delay_alu instid0(SALU_CYCLE_1)
	s_or_b32 exec_lo, exec_lo, s1
.LBB0_22:                               ;   in Loop: Header=BB0_6 Depth=1
	s_delay_alu instid0(SALU_CYCLE_1)
	s_or_b32 exec_lo, exec_lo, s23
	s_mov_b32 s16, 0
.LBB0_23:                               ;   in Loop: Header=BB0_6 Depth=1
	s_and_not1_saveexec_b32 s17, s22
	s_cbranch_execz .LBB0_45
; %bb.24:                               ;   in Loop: Header=BB0_6 Depth=1
	v_cmp_neq_f64_e32 vcc_lo, 0, v[25:26]
	v_cmp_neq_f64_e64 s1, 0, v[10:11]
                                        ; implicit-def: $vgpr29_vgpr30
                                        ; implicit-def: $vgpr27_vgpr28
                                        ; implicit-def: $sgpr22
	s_delay_alu instid0(VALU_DEP_1) | instskip(NEXT) | instid1(VALU_DEP_4)
	s_or_b32 s24, vcc_lo, s1
	s_and_saveexec_b32 s1, s0
	s_delay_alu instid0(SALU_CYCLE_1)
	s_xor_b32 s23, exec_lo, s1
	s_cbranch_execz .LBB0_34
; %bb.25:                               ;   in Loop: Header=BB0_6 Depth=1
	v_dual_mov_b32 v30, v26 :: v_dual_mov_b32 v29, v25
	v_dual_mov_b32 v28, v11 :: v_dual_mov_b32 v27, v10
	s_and_saveexec_b32 s22, s24
	s_cbranch_execz .LBB0_33
; %bb.26:                               ;   in Loop: Header=BB0_6 Depth=1
	s_mov_b32 s25, exec_lo
                                        ; implicit-def: $vgpr27_vgpr28
                                        ; implicit-def: $sgpr0_sgpr1
	v_cmpx_ngt_f64_e32 0, v[10:11]
	s_xor_b32 s25, exec_lo, s25
	s_cbranch_execz .LBB0_30
; %bb.27:                               ;   in Loop: Header=BB0_6 Depth=1
	v_mov_b32_e32 v27, 0
	v_mov_b32_e32 v28, 0x7ff00000
	s_mov_b32 s0, exec_lo
	v_cmpx_ngt_f64_e32 0, v[25:26]
; %bb.28:                               ;   in Loop: Header=BB0_6 Depth=1
	v_div_scale_f64 v[4:5], null, v[8:9], v[8:9], v[25:26]
	s_delay_alu instid0(VALU_DEP_1) | instskip(SKIP_2) | instid1(VALU_DEP_1)
	v_rcp_f64_e32 v[6:7], v[4:5]
	s_waitcnt_depctr 0xfff
	v_fma_f64 v[27:28], -v[4:5], v[6:7], 1.0
	v_fma_f64 v[6:7], v[6:7], v[27:28], v[6:7]
	s_delay_alu instid0(VALU_DEP_1) | instskip(NEXT) | instid1(VALU_DEP_1)
	v_fma_f64 v[27:28], -v[4:5], v[6:7], 1.0
	v_fma_f64 v[6:7], v[6:7], v[27:28], v[6:7]
	v_div_scale_f64 v[27:28], vcc_lo, v[25:26], v[8:9], v[25:26]
	s_delay_alu instid0(VALU_DEP_1) | instskip(NEXT) | instid1(VALU_DEP_1)
	v_mul_f64 v[29:30], v[27:28], v[6:7]
	v_fma_f64 v[4:5], -v[4:5], v[29:30], v[27:28]
	s_delay_alu instid0(VALU_DEP_1) | instskip(NEXT) | instid1(VALU_DEP_1)
	v_div_fmas_f64 v[4:5], v[4:5], v[6:7], v[29:30]
	v_div_fixup_f64 v[27:28], v[4:5], v[8:9], v[25:26]
; %bb.29:                               ;   in Loop: Header=BB0_6 Depth=1
	s_or_b32 exec_lo, exec_lo, s0
	s_mov_b32 s0, 0
	s_mov_b32 s1, 0xfff00000
.LBB0_30:                               ;   in Loop: Header=BB0_6 Depth=1
	s_or_saveexec_b32 s25, s25
	v_dual_mov_b32 v30, s1 :: v_dual_mov_b32 v29, s0
	s_xor_b32 exec_lo, exec_lo, s25
	s_cbranch_execz .LBB0_32
; %bb.31:                               ;   in Loop: Header=BB0_6 Depth=1
	v_div_scale_f64 v[4:5], null, v[8:9], v[8:9], v[10:11]
	s_delay_alu instid0(VALU_DEP_1) | instskip(SKIP_2) | instid1(VALU_DEP_1)
	v_rcp_f64_e32 v[6:7], v[4:5]
	s_waitcnt_depctr 0xfff
	v_fma_f64 v[27:28], -v[4:5], v[6:7], 1.0
	v_fma_f64 v[6:7], v[6:7], v[27:28], v[6:7]
	s_delay_alu instid0(VALU_DEP_1) | instskip(NEXT) | instid1(VALU_DEP_1)
	v_fma_f64 v[27:28], -v[4:5], v[6:7], 1.0
	v_fma_f64 v[6:7], v[6:7], v[27:28], v[6:7]
	v_div_scale_f64 v[27:28], vcc_lo, v[10:11], v[8:9], v[10:11]
	s_delay_alu instid0(VALU_DEP_1) | instskip(NEXT) | instid1(VALU_DEP_1)
	v_mul_f64 v[29:30], v[27:28], v[6:7]
	v_fma_f64 v[4:5], -v[4:5], v[29:30], v[27:28]
	v_mov_b32_e32 v27, 0
	v_mov_b32_e32 v28, 0x7ff00000
	s_delay_alu instid0(VALU_DEP_3) | instskip(NEXT) | instid1(VALU_DEP_1)
	v_div_fmas_f64 v[4:5], v[4:5], v[6:7], v[29:30]
	v_div_fixup_f64 v[29:30], v[4:5], v[8:9], v[10:11]
.LBB0_32:                               ;   in Loop: Header=BB0_6 Depth=1
	s_or_b32 exec_lo, exec_lo, s25
.LBB0_33:                               ;   in Loop: Header=BB0_6 Depth=1
	s_delay_alu instid0(SALU_CYCLE_1)
	s_or_b32 exec_lo, exec_lo, s22
	s_mov_b32 s22, 0
.LBB0_34:                               ;   in Loop: Header=BB0_6 Depth=1
	s_and_not1_saveexec_b32 s23, s23
	s_cbranch_execz .LBB0_44
; %bb.35:                               ;   in Loop: Header=BB0_6 Depth=1
	v_dual_mov_b32 v30, v26 :: v_dual_mov_b32 v29, v25
	v_dual_mov_b32 v28, v11 :: v_dual_mov_b32 v27, v10
	s_mov_b32 s0, 0
	s_and_saveexec_b32 s25, s24
	s_cbranch_execz .LBB0_43
; %bb.36:                               ;   in Loop: Header=BB0_6 Depth=1
	s_mov_b32 s26, exec_lo
                                        ; implicit-def: $sgpr24
                                        ; implicit-def: $vgpr27_vgpr28
                                        ; implicit-def: $sgpr0_sgpr1
	v_cmpx_ngt_f64_e32 0, v[10:11]
	s_xor_b32 s26, exec_lo, s26
	s_cbranch_execz .LBB0_40
; %bb.37:                               ;   in Loop: Header=BB0_6 Depth=1
	v_mov_b32_e32 v27, 0
	v_mov_b32_e32 v28, 0x7ff00000
	s_mov_b32 s24, 0
	s_mov_b32 s0, exec_lo
	v_cmpx_ngt_f64_e32 0, v[25:26]
	s_cbranch_execz .LBB0_39
; %bb.38:                               ;   in Loop: Header=BB0_6 Depth=1
	v_div_scale_f64 v[4:5], null, v[8:9], v[8:9], v[25:26]
	s_mov_b32 s24, exec_lo
	s_delay_alu instid0(VALU_DEP_1) | instskip(SKIP_2) | instid1(VALU_DEP_1)
	v_rcp_f64_e32 v[6:7], v[4:5]
	s_waitcnt_depctr 0xfff
	v_fma_f64 v[27:28], -v[4:5], v[6:7], 1.0
	v_fma_f64 v[6:7], v[6:7], v[27:28], v[6:7]
	s_delay_alu instid0(VALU_DEP_1) | instskip(NEXT) | instid1(VALU_DEP_1)
	v_fma_f64 v[27:28], -v[4:5], v[6:7], 1.0
	v_fma_f64 v[6:7], v[6:7], v[27:28], v[6:7]
	v_div_scale_f64 v[27:28], vcc_lo, v[25:26], v[8:9], v[25:26]
	s_delay_alu instid0(VALU_DEP_1) | instskip(NEXT) | instid1(VALU_DEP_1)
	v_mul_f64 v[29:30], v[27:28], v[6:7]
	v_fma_f64 v[4:5], -v[4:5], v[29:30], v[27:28]
	s_delay_alu instid0(VALU_DEP_1) | instskip(NEXT) | instid1(VALU_DEP_1)
	v_div_fmas_f64 v[4:5], v[4:5], v[6:7], v[29:30]
	v_div_fixup_f64 v[27:28], v[4:5], v[8:9], v[25:26]
.LBB0_39:                               ;   in Loop: Header=BB0_6 Depth=1
	s_or_b32 exec_lo, exec_lo, s0
	s_mov_b32 s0, 0
	s_mov_b32 s1, 0xfff00000
	s_and_b32 s24, s24, exec_lo
.LBB0_40:                               ;   in Loop: Header=BB0_6 Depth=1
	s_or_saveexec_b32 s26, s26
	v_dual_mov_b32 v30, s1 :: v_dual_mov_b32 v29, s0
	s_xor_b32 exec_lo, exec_lo, s26
	s_cbranch_execz .LBB0_42
; %bb.41:                               ;   in Loop: Header=BB0_6 Depth=1
	v_div_scale_f64 v[4:5], null, v[23:24], v[23:24], v[10:11]
	s_or_b32 s24, s24, exec_lo
	s_delay_alu instid0(VALU_DEP_1) | instskip(SKIP_2) | instid1(VALU_DEP_1)
	v_rcp_f64_e32 v[6:7], v[4:5]
	s_waitcnt_depctr 0xfff
	v_fma_f64 v[27:28], -v[4:5], v[6:7], 1.0
	v_fma_f64 v[6:7], v[6:7], v[27:28], v[6:7]
	s_delay_alu instid0(VALU_DEP_1) | instskip(NEXT) | instid1(VALU_DEP_1)
	v_fma_f64 v[27:28], -v[4:5], v[6:7], 1.0
	v_fma_f64 v[6:7], v[6:7], v[27:28], v[6:7]
	v_div_scale_f64 v[27:28], vcc_lo, v[10:11], v[23:24], v[10:11]
	s_delay_alu instid0(VALU_DEP_1) | instskip(NEXT) | instid1(VALU_DEP_1)
	v_mul_f64 v[29:30], v[27:28], v[6:7]
	v_fma_f64 v[4:5], -v[4:5], v[29:30], v[27:28]
	s_delay_alu instid0(VALU_DEP_1) | instskip(SKIP_2) | instid1(VALU_DEP_3)
	v_div_fmas_f64 v[4:5], v[4:5], v[6:7], v[29:30]
	v_mov_b32_e32 v29, 0
	v_mov_b32_e32 v30, 0xfff00000
	v_div_fixup_f64 v[27:28], v[4:5], v[23:24], v[10:11]
.LBB0_42:                               ;   in Loop: Header=BB0_6 Depth=1
	s_or_b32 exec_lo, exec_lo, s26
	s_delay_alu instid0(SALU_CYCLE_1)
	s_and_b32 s0, s24, exec_lo
.LBB0_43:                               ;   in Loop: Header=BB0_6 Depth=1
	s_or_b32 exec_lo, exec_lo, s25
	s_delay_alu instid0(SALU_CYCLE_1) | instskip(SKIP_1) | instid1(SALU_CYCLE_1)
	s_and_not1_b32 s1, s22, exec_lo
	s_and_b32 s0, s0, exec_lo
	s_or_b32 s22, s1, s0
.LBB0_44:                               ;   in Loop: Header=BB0_6 Depth=1
	s_or_b32 exec_lo, exec_lo, s23
	s_delay_alu instid0(SALU_CYCLE_1) | instskip(SKIP_1) | instid1(SALU_CYCLE_1)
	s_and_not1_b32 s0, s16, exec_lo
	s_and_b32 s1, s22, exec_lo
	s_or_b32 s16, s0, s1
.LBB0_45:                               ;   in Loop: Header=BB0_6 Depth=1
	s_or_b32 exec_lo, exec_lo, s17
	s_delay_alu instid0(SALU_CYCLE_1)
	s_and_b32 s1, s16, exec_lo
.LBB0_46:                               ;   in Loop: Header=BB0_6 Depth=1
	s_and_not1_saveexec_b32 s16, s21
	s_cbranch_execz .LBB0_52
; %bb.47:                               ;   in Loop: Header=BB0_6 Depth=1
	v_cmp_gt_f64_e32 vcc_lo, 0, v[23:24]
	v_dual_mov_b32 v6, v23 :: v_dual_mov_b32 v7, v24
	v_dual_mov_b32 v4, v8 :: v_dual_mov_b32 v5, v9
	s_mov_b32 s17, exec_lo
	s_delay_alu instid0(VALU_DEP_4)
	v_cmpx_ngt_f64_e32 0, v[10:11]
	s_cbranch_execz .LBB0_51
; %bb.48:                               ;   in Loop: Header=BB0_6 Depth=1
	v_dual_mov_b32 v4, v23 :: v_dual_mov_b32 v5, v24
	v_dual_mov_b32 v6, v8 :: v_dual_mov_b32 v7, v9
	s_mov_b32 s21, exec_lo
	v_cmpx_gt_f64_e32 0, v[25:26]
; %bb.49:                               ;   in Loop: Header=BB0_6 Depth=1
	v_dual_cndmask_b32 v5, v9, v24 :: v_dual_cndmask_b32 v4, v8, v23
	s_delay_alu instid0(VALU_DEP_1)
	v_dual_mov_b32 v7, v5 :: v_dual_mov_b32 v6, v4
; %bb.50:                               ;   in Loop: Header=BB0_6 Depth=1
	s_or_b32 exec_lo, exec_lo, s21
.LBB0_51:                               ;   in Loop: Header=BB0_6 Depth=1
	s_delay_alu instid0(SALU_CYCLE_1) | instskip(SKIP_3) | instid1(VALU_DEP_2)
	s_or_b32 exec_lo, exec_lo, s17
	v_dual_cndmask_b32 v28, v26, v11 :: v_dual_cndmask_b32 v27, v25, v10
	v_dual_cndmask_b32 v35, v11, v26 :: v_dual_cndmask_b32 v34, v10, v25
	s_and_not1_b32 s1, s1, exec_lo
	v_div_scale_f64 v[29:30], null, v[4:5], v[4:5], v[27:28]
	s_delay_alu instid0(VALU_DEP_2) | instskip(SKIP_1) | instid1(VALU_DEP_3)
	v_div_scale_f64 v[36:37], null, v[6:7], v[6:7], v[34:35]
	v_div_scale_f64 v[46:47], vcc_lo, v[27:28], v[4:5], v[27:28]
	v_rcp_f64_e32 v[38:39], v[29:30]
	s_delay_alu instid0(VALU_DEP_2) | instskip(SKIP_3) | instid1(VALU_DEP_2)
	v_rcp_f64_e32 v[40:41], v[36:37]
	s_waitcnt_depctr 0xfff
	v_fma_f64 v[42:43], -v[29:30], v[38:39], 1.0
	v_fma_f64 v[44:45], -v[36:37], v[40:41], 1.0
	v_fma_f64 v[38:39], v[38:39], v[42:43], v[38:39]
	s_delay_alu instid0(VALU_DEP_2) | instskip(NEXT) | instid1(VALU_DEP_2)
	v_fma_f64 v[40:41], v[40:41], v[44:45], v[40:41]
	v_fma_f64 v[42:43], -v[29:30], v[38:39], 1.0
	s_delay_alu instid0(VALU_DEP_2) | instskip(NEXT) | instid1(VALU_DEP_2)
	v_fma_f64 v[44:45], -v[36:37], v[40:41], 1.0
	v_fma_f64 v[38:39], v[38:39], v[42:43], v[38:39]
	v_div_scale_f64 v[42:43], s0, v[34:35], v[6:7], v[34:35]
	s_delay_alu instid0(VALU_DEP_3) | instskip(NEXT) | instid1(VALU_DEP_3)
	v_fma_f64 v[40:41], v[40:41], v[44:45], v[40:41]
	v_mul_f64 v[44:45], v[46:47], v[38:39]
	s_delay_alu instid0(VALU_DEP_2) | instskip(NEXT) | instid1(VALU_DEP_2)
	v_mul_f64 v[48:49], v[42:43], v[40:41]
	v_fma_f64 v[29:30], -v[29:30], v[44:45], v[46:47]
	s_delay_alu instid0(VALU_DEP_2) | instskip(NEXT) | instid1(VALU_DEP_2)
	v_fma_f64 v[36:37], -v[36:37], v[48:49], v[42:43]
	v_div_fmas_f64 v[29:30], v[29:30], v[38:39], v[44:45]
	s_mov_b32 vcc_lo, s0
	s_delay_alu instid0(VALU_DEP_2) | instskip(NEXT) | instid1(VALU_DEP_2)
	v_div_fmas_f64 v[36:37], v[36:37], v[40:41], v[48:49]
	v_div_fixup_f64 v[29:30], v[29:30], v[4:5], v[27:28]
	s_delay_alu instid0(VALU_DEP_2)
	v_div_fixup_f64 v[27:28], v[36:37], v[6:7], v[34:35]
.LBB0_52:                               ;   in Loop: Header=BB0_6 Depth=1
	s_or_b32 exec_lo, exec_lo, s16
	v_mov_b32_e32 v6, s14
	v_mov_b32_e32 v7, s15
	s_delay_alu instid0(VALU_DEP_1)
	v_dual_mov_b32 v4, v6 :: v_dual_mov_b32 v5, v7
	s_and_saveexec_b32 s0, s1
	s_cbranch_execz .LBB0_58
; %bb.53:                               ;   in Loop: Header=BB0_6 Depth=1
	s_mov_b32 s16, exec_lo
                                        ; implicit-def: $vgpr4_vgpr5
	s_delay_alu instid0(VALU_DEP_4)
	v_cmpx_ngt_f64_e32 0, v[10:11]
	s_xor_b32 s16, exec_lo, s16
; %bb.54:                               ;   in Loop: Header=BB0_6 Depth=1
	v_div_scale_f64 v[4:5], null, v[23:24], v[23:24], v[25:26]
	s_delay_alu instid0(VALU_DEP_1) | instskip(SKIP_2) | instid1(VALU_DEP_1)
	v_rcp_f64_e32 v[6:7], v[4:5]
	s_waitcnt_depctr 0xfff
	v_fma_f64 v[8:9], -v[4:5], v[6:7], 1.0
	v_fma_f64 v[6:7], v[6:7], v[8:9], v[6:7]
	s_delay_alu instid0(VALU_DEP_1) | instskip(NEXT) | instid1(VALU_DEP_1)
	v_fma_f64 v[8:9], -v[4:5], v[6:7], 1.0
	v_fma_f64 v[6:7], v[6:7], v[8:9], v[6:7]
	v_div_scale_f64 v[8:9], vcc_lo, v[25:26], v[23:24], v[25:26]
	s_delay_alu instid0(VALU_DEP_1) | instskip(NEXT) | instid1(VALU_DEP_1)
	v_mul_f64 v[10:11], v[8:9], v[6:7]
	v_fma_f64 v[4:5], -v[4:5], v[10:11], v[8:9]
                                        ; implicit-def: $vgpr8_vgpr9
	s_delay_alu instid0(VALU_DEP_1) | instskip(NEXT) | instid1(VALU_DEP_1)
	v_div_fmas_f64 v[4:5], v[4:5], v[6:7], v[10:11]
                                        ; implicit-def: $vgpr10_vgpr11
	v_div_fixup_f64 v[4:5], v[4:5], v[23:24], v[25:26]
; %bb.55:                               ;   in Loop: Header=BB0_6 Depth=1
	s_and_not1_saveexec_b32 s16, s16
; %bb.56:                               ;   in Loop: Header=BB0_6 Depth=1
	v_div_scale_f64 v[4:5], null, v[8:9], v[8:9], v[10:11]
	s_delay_alu instid0(VALU_DEP_1) | instskip(SKIP_2) | instid1(VALU_DEP_1)
	v_rcp_f64_e32 v[6:7], v[4:5]
	s_waitcnt_depctr 0xfff
	v_fma_f64 v[23:24], -v[4:5], v[6:7], 1.0
	v_fma_f64 v[6:7], v[6:7], v[23:24], v[6:7]
	s_delay_alu instid0(VALU_DEP_1) | instskip(NEXT) | instid1(VALU_DEP_1)
	v_fma_f64 v[23:24], -v[4:5], v[6:7], 1.0
	v_fma_f64 v[6:7], v[6:7], v[23:24], v[6:7]
	v_div_scale_f64 v[23:24], vcc_lo, v[10:11], v[8:9], v[10:11]
	s_delay_alu instid0(VALU_DEP_1) | instskip(NEXT) | instid1(VALU_DEP_1)
	v_mul_f64 v[25:26], v[23:24], v[6:7]
	v_fma_f64 v[4:5], -v[4:5], v[25:26], v[23:24]
	s_delay_alu instid0(VALU_DEP_1) | instskip(NEXT) | instid1(VALU_DEP_1)
	v_div_fmas_f64 v[4:5], v[4:5], v[6:7], v[25:26]
	v_div_fixup_f64 v[4:5], v[4:5], v[8:9], v[10:11]
; %bb.57:                               ;   in Loop: Header=BB0_6 Depth=1
	s_or_b32 exec_lo, exec_lo, s16
	v_add_f64 v[6:7], 0xfff00000, v[19:20]
	s_delay_alu instid0(VALU_DEP_2) | instskip(SKIP_2) | instid1(VALU_DEP_2)
	v_add_f64 v[4:5], v[19:20], -v[4:5]
	v_max_f64 v[8:9], v[0:1], v[0:1]
	v_max_f64 v[10:11], v[2:3], v[2:3]
	;; [unrolled: 1-line block ×3, first 2 shown]
	s_delay_alu instid0(VALU_DEP_2) | instskip(NEXT) | instid1(VALU_DEP_1)
	v_min_f64 v[8:9], v[4:5], v[10:11]
	v_cmp_nle_f64_e32 vcc_lo, v[6:7], v[8:9]
	v_cndmask_b32_e64 v5, v7, 0x7ff80000, vcc_lo
	v_cndmask_b32_e64 v4, v6, 0, vcc_lo
	;; [unrolled: 1-line block ×4, first 2 shown]
.LBB0_58:                               ;   in Loop: Header=BB0_6 Depth=1
	s_or_b32 exec_lo, exec_lo, s0
	s_delay_alu instid0(VALU_DEP_4) | instskip(SKIP_4) | instid1(VALU_DEP_2)
	v_add_f64 v[8:9], v[19:20], -v[27:28]
	v_add_f64 v[10:11], v[19:20], -v[29:30]
	v_max_f64 v[23:24], v[0:1], v[0:1]
	v_max_f64 v[25:26], v[2:3], v[2:3]
	s_mov_b32 s16, exec_lo
	v_max_f64 v[8:9], v[8:9], v[23:24]
	s_delay_alu instid0(VALU_DEP_2) | instskip(NEXT) | instid1(VALU_DEP_1)
	v_min_f64 v[10:11], v[10:11], v[25:26]
	v_cmp_nle_f64_e32 vcc_lo, v[8:9], v[10:11]
	v_cndmask_b32_e64 v9, v9, 0x7ff80000, vcc_lo
	v_cndmask_b32_e64 v8, v8, 0, vcc_lo
	;; [unrolled: 1-line block ×4, first 2 shown]
	s_delay_alu instid0(VALU_DEP_1) | instskip(NEXT) | instid1(VALU_DEP_1)
	v_add_f64 v[23:24], v[8:9], v[10:11]
	v_cmpx_o_f64_e32 v[23:24], v[23:24]
	s_cbranch_execz .LBB0_70
; %bb.59:                               ;   in Loop: Header=BB0_6 Depth=1
	v_mul_f64 v[23:24], v[23:24], 0.5
	v_add_f64 v[25:26], v[10:11], -v[8:9]
	s_mov_b32 s21, -1
	s_mov_b32 s17, exec_lo
	s_delay_alu instid0(VALU_DEP_2) | instskip(NEXT) | instid1(VALU_DEP_1)
	v_mul_f64 v[23:24], |v[23:24]|, s[2:3]
	v_cmpx_nle_f64_e32 v[25:26], v[23:24]
	s_cbranch_execz .LBB0_67
; %bb.60:                               ;   in Loop: Header=BB0_6 Depth=1
	v_add_f64 v[29:30], v[8:9], -1.0
	v_add_f64 v[27:28], v[10:11], -1.0
	s_mov_b32 s0, exec_lo
	s_delay_alu instid0(VALU_DEP_2) | instskip(NEXT) | instid1(VALU_DEP_2)
	v_mul_f64 v[23:24], v[29:30], v[29:30]
	v_mul_f64 v[25:26], v[27:28], v[27:28]
	v_cmpx_le_f64_e32 0, v[29:30]
	s_xor_b32 s0, exec_lo, s0
; %bb.61:                               ;   in Loop: Header=BB0_6 Depth=1
	v_mul_f64 v[25:26], v[29:30], v[29:30]
	v_mul_f64 v[23:24], v[27:28], v[27:28]
                                        ; implicit-def: $vgpr27_vgpr28
; %bb.62:                               ;   in Loop: Header=BB0_6 Depth=1
	s_and_not1_saveexec_b32 s0, s0
	s_cbranch_execz .LBB0_66
; %bb.63:                               ;   in Loop: Header=BB0_6 Depth=1
	s_mov_b32 s21, exec_lo
	v_cmpx_ge_f64_e32 0, v[27:28]
	s_xor_b32 s21, exec_lo, s21
	s_delay_alu instid0(SALU_CYCLE_1)
	s_and_not1_saveexec_b32 s21, s21
; %bb.64:                               ;   in Loop: Header=BB0_6 Depth=1
	s_delay_alu instid0(VALU_DEP_2)
	v_max_f64 v[23:24], v[23:24], v[25:26]
	v_mov_b32_e32 v25, 0
	v_mov_b32_e32 v26, 0
; %bb.65:                               ;   in Loop: Header=BB0_6 Depth=1
	s_or_b32 exec_lo, exec_lo, s21
.LBB0_66:                               ;   in Loop: Header=BB0_6 Depth=1
	s_delay_alu instid0(SALU_CYCLE_1) | instskip(SKIP_2) | instid1(VALU_DEP_1)
	s_or_b32 exec_lo, exec_lo, s0
	v_mul_f64 v[27:28], v[13:14], v[8:9]
	v_mul_f64 v[29:30], v[13:14], v[10:11]
	v_min_f64 v[34:35], v[27:28], v[29:30]
	v_max_f64 v[27:28], v[27:28], v[29:30]
	s_delay_alu instid0(VALU_DEP_2) | instskip(NEXT) | instid1(VALU_DEP_2)
	v_add_f64 v[25:26], v[34:35], v[25:26]
	v_add_f64 v[23:24], v[27:28], v[23:24]
	s_delay_alu instid0(VALU_DEP_1) | instskip(SKIP_1) | instid1(VALU_DEP_2)
	v_add_f64 v[27:28], v[25:26], v[23:24]
	v_add_f64 v[23:24], v[23:24], -v[25:26]
	v_cmp_u_f64_e32 vcc_lo, v[27:28], v[27:28]
	s_delay_alu instid0(VALU_DEP_2) | instskip(NEXT) | instid1(VALU_DEP_1)
	v_cmp_ge_f64_e64 s0, s[2:3], v[23:24]
	s_or_b32 s0, vcc_lo, s0
	s_delay_alu instid0(SALU_CYCLE_1)
	s_or_not1_b32 s21, s0, exec_lo
.LBB0_67:                               ;   in Loop: Header=BB0_6 Depth=1
	s_or_b32 exec_lo, exec_lo, s17
	s_and_saveexec_b32 s0, s21
	s_cbranch_execz .LBB0_69
; %bb.68:                               ;   in Loop: Header=BB0_6 Depth=1
	v_ashrrev_i32_e32 v18, 31, v17
	s_delay_alu instid0(VALU_DEP_1) | instskip(SKIP_1) | instid1(VALU_DEP_2)
	v_lshlrev_b64 v[23:24], 4, v[17:18]
	v_add_nc_u32_e32 v17, 0x10000, v17
	v_add_co_u32 v23, vcc_lo, s4, v23
	s_delay_alu instid0(VALU_DEP_3) | instskip(NEXT) | instid1(VALU_DEP_3)
	v_add_co_ci_u32_e32 v24, vcc_lo, s5, v24, vcc_lo
	v_mov_b32_e32 v31, v17
	global_store_b128 v[23:24], v[8:11], off
	v_mov_b32_e32 v10, s14
	v_mov_b32_e32 v11, s15
	s_delay_alu instid0(VALU_DEP_1)
	v_dual_mov_b32 v8, v10 :: v_dual_mov_b32 v9, v11
.LBB0_69:                               ;   in Loop: Header=BB0_6 Depth=1
	s_or_b32 exec_lo, exec_lo, s0
.LBB0_70:                               ;   in Loop: Header=BB0_6 Depth=1
	s_delay_alu instid0(SALU_CYCLE_1)
	s_or_b32 exec_lo, exec_lo, s16
	s_and_saveexec_b32 s16, s1
	s_cbranch_execz .LBB0_84
; %bb.71:                               ;   in Loop: Header=BB0_6 Depth=1
	v_add_f64 v[23:24], v[4:5], v[6:7]
	s_mov_b32 s17, exec_lo
	s_delay_alu instid0(VALU_DEP_1)
	v_cmpx_o_f64_e32 v[23:24], v[23:24]
	s_cbranch_execz .LBB0_83
; %bb.72:                               ;   in Loop: Header=BB0_6 Depth=1
	v_mul_f64 v[23:24], v[23:24], 0.5
	v_add_f64 v[25:26], v[6:7], -v[4:5]
	s_mov_b32 s22, -1
	s_mov_b32 s21, exec_lo
	s_delay_alu instid0(VALU_DEP_2) | instskip(NEXT) | instid1(VALU_DEP_1)
	v_mul_f64 v[23:24], |v[23:24]|, s[2:3]
	v_cmpx_nle_f64_e32 v[25:26], v[23:24]
	s_cbranch_execz .LBB0_80
; %bb.73:                               ;   in Loop: Header=BB0_6 Depth=1
	v_add_f64 v[29:30], v[4:5], -1.0
	v_add_f64 v[27:28], v[6:7], -1.0
	s_mov_b32 s0, exec_lo
	s_delay_alu instid0(VALU_DEP_2) | instskip(NEXT) | instid1(VALU_DEP_2)
	v_mul_f64 v[23:24], v[29:30], v[29:30]
	v_mul_f64 v[25:26], v[27:28], v[27:28]
	v_cmpx_le_f64_e32 0, v[29:30]
	s_xor_b32 s0, exec_lo, s0
; %bb.74:                               ;   in Loop: Header=BB0_6 Depth=1
	v_mul_f64 v[25:26], v[29:30], v[29:30]
	v_mul_f64 v[23:24], v[27:28], v[27:28]
                                        ; implicit-def: $vgpr27_vgpr28
; %bb.75:                               ;   in Loop: Header=BB0_6 Depth=1
	s_and_not1_saveexec_b32 s0, s0
	s_cbranch_execz .LBB0_79
; %bb.76:                               ;   in Loop: Header=BB0_6 Depth=1
	s_mov_b32 s22, exec_lo
	v_cmpx_ge_f64_e32 0, v[27:28]
	s_xor_b32 s22, exec_lo, s22
	s_delay_alu instid0(SALU_CYCLE_1)
	s_and_not1_saveexec_b32 s22, s22
; %bb.77:                               ;   in Loop: Header=BB0_6 Depth=1
	s_delay_alu instid0(VALU_DEP_2)
	v_max_f64 v[23:24], v[23:24], v[25:26]
	v_mov_b32_e32 v25, 0
	v_mov_b32_e32 v26, 0
; %bb.78:                               ;   in Loop: Header=BB0_6 Depth=1
	s_or_b32 exec_lo, exec_lo, s22
.LBB0_79:                               ;   in Loop: Header=BB0_6 Depth=1
	s_delay_alu instid0(SALU_CYCLE_1) | instskip(SKIP_2) | instid1(VALU_DEP_1)
	s_or_b32 exec_lo, exec_lo, s0
	v_mul_f64 v[27:28], v[13:14], v[4:5]
	v_mul_f64 v[29:30], v[13:14], v[6:7]
	v_min_f64 v[34:35], v[27:28], v[29:30]
	v_max_f64 v[27:28], v[27:28], v[29:30]
	s_delay_alu instid0(VALU_DEP_2) | instskip(NEXT) | instid1(VALU_DEP_2)
	v_add_f64 v[25:26], v[34:35], v[25:26]
	v_add_f64 v[23:24], v[27:28], v[23:24]
	s_delay_alu instid0(VALU_DEP_1) | instskip(SKIP_1) | instid1(VALU_DEP_2)
	v_add_f64 v[27:28], v[25:26], v[23:24]
	v_add_f64 v[23:24], v[23:24], -v[25:26]
	v_cmp_u_f64_e32 vcc_lo, v[27:28], v[27:28]
	s_delay_alu instid0(VALU_DEP_2) | instskip(NEXT) | instid1(VALU_DEP_1)
	v_cmp_ge_f64_e64 s0, s[2:3], v[23:24]
	s_or_b32 s0, vcc_lo, s0
	s_delay_alu instid0(SALU_CYCLE_1)
	s_or_not1_b32 s22, s0, exec_lo
.LBB0_80:                               ;   in Loop: Header=BB0_6 Depth=1
	s_or_b32 exec_lo, exec_lo, s21
	s_and_saveexec_b32 s0, s22
	s_cbranch_execz .LBB0_82
; %bb.81:                               ;   in Loop: Header=BB0_6 Depth=1
	v_ashrrev_i32_e32 v18, 31, v17
	s_delay_alu instid0(VALU_DEP_1) | instskip(SKIP_1) | instid1(VALU_DEP_2)
	v_lshlrev_b64 v[23:24], 4, v[17:18]
	v_add_nc_u32_e32 v17, 0x10000, v17
	v_add_co_u32 v23, vcc_lo, s4, v23
	s_delay_alu instid0(VALU_DEP_3) | instskip(NEXT) | instid1(VALU_DEP_3)
	v_add_co_ci_u32_e32 v24, vcc_lo, s5, v24, vcc_lo
	v_mov_b32_e32 v31, v17
	global_store_b128 v[23:24], v[4:7], off
	v_mov_b32_e32 v6, s14
	v_mov_b32_e32 v7, s15
	s_delay_alu instid0(VALU_DEP_1)
	v_dual_mov_b32 v4, v6 :: v_dual_mov_b32 v5, v7
.LBB0_82:                               ;   in Loop: Header=BB0_6 Depth=1
	s_or_b32 exec_lo, exec_lo, s0
.LBB0_83:                               ;   in Loop: Header=BB0_6 Depth=1
	s_delay_alu instid0(SALU_CYCLE_1)
	s_or_b32 exec_lo, exec_lo, s17
.LBB0_84:                               ;   in Loop: Header=BB0_6 Depth=1
	s_delay_alu instid0(SALU_CYCLE_1) | instskip(SKIP_4) | instid1(VALU_DEP_4)
	s_or_b32 exec_lo, exec_lo, s16
	v_add_f64 v[23:24], v[2:3], -v[0:1]
	v_cmp_o_f64_e32 vcc_lo, v[21:22], v[21:22]
	v_add_f64 v[21:22], v[8:9], v[10:11]
	v_add_f64 v[27:28], v[10:11], -v[8:9]
                                        ; implicit-def: $sgpr16
	v_mul_f64 v[23:24], v[23:24], s[12:13]
	s_delay_alu instid0(VALU_DEP_1) | instskip(NEXT) | instid1(VALU_DEP_4)
	v_dual_cndmask_b32 v26, 0, v24 :: v_dual_cndmask_b32 v25, 0, v23
	v_cmp_o_f64_e32 vcc_lo, v[21:22], v[21:22]
                                        ; implicit-def: $vgpr23_vgpr24
	s_delay_alu instid0(VALU_DEP_2) | instskip(NEXT) | instid1(VALU_DEP_1)
	v_cmp_gt_f64_e64 s0, v[27:28], v[25:26]
	s_and_b32 s17, vcc_lo, s0
	s_delay_alu instid0(SALU_CYCLE_1) | instskip(NEXT) | instid1(SALU_CYCLE_1)
	s_xor_b32 s0, s17, -1
	s_and_saveexec_b32 s21, s0
; %bb.85:                               ;   in Loop: Header=BB0_6 Depth=1
	v_add_f64 v[23:24], v[4:5], v[6:7]
	v_add_f64 v[27:28], v[6:7], -v[4:5]
	s_and_not1_b32 s17, s17, exec_lo
	s_and_b32 s16, s1, exec_lo
	s_delay_alu instid0(VALU_DEP_2) | instskip(NEXT) | instid1(VALU_DEP_2)
	v_cmp_o_f64_e32 vcc_lo, v[23:24], v[23:24]
	v_cmp_gt_f64_e64 s0, v[27:28], v[25:26]
	s_delay_alu instid0(VALU_DEP_1) | instskip(NEXT) | instid1(SALU_CYCLE_1)
	s_and_b32 s0, vcc_lo, s0
	s_and_b32 s0, s0, exec_lo
	s_delay_alu instid0(SALU_CYCLE_1)
	s_or_b32 s17, s17, s0
; %bb.86:                               ;   in Loop: Header=BB0_6 Depth=1
	s_or_b32 exec_lo, exec_lo, s21
	s_and_saveexec_b32 s0, s17
; %bb.87:                               ;   in Loop: Header=BB0_6 Depth=1
	v_add_f64 v[21:22], v[0:1], v[19:20]
	v_add_f64 v[23:24], v[19:20], v[2:3]
	v_dual_mov_b32 v4, v19 :: v_dual_mov_b32 v5, v20
	v_dual_mov_b32 v7, v3 :: v_dual_mov_b32 v6, v2
	;; [unrolled: 1-line block ×4, first 2 shown]
	s_or_b32 s16, s16, exec_lo
; %bb.88:                               ;   in Loop: Header=BB0_6 Depth=1
	s_or_b32 exec_lo, exec_lo, s0
	v_cmp_o_f64_e32 vcc_lo, v[23:24], v[23:24]
	v_cmp_o_f64_e64 s0, v[21:22], v[21:22]
                                        ; implicit-def: $sgpr1
	s_and_b32 s16, vcc_lo, s16
	s_delay_alu instid0(VALU_DEP_1) | instskip(NEXT) | instid1(SALU_CYCLE_1)
	s_and_saveexec_b32 s17, s0
	s_xor_b32 s0, exec_lo, s17
	s_cbranch_execz .LBB0_92
; %bb.89:                               ;   in Loop: Header=BB0_6 Depth=1
	s_and_saveexec_b32 s1, s16
	s_cbranch_execz .LBB0_91
; %bb.90:                               ;   in Loop: Header=BB0_6 Depth=1
	v_add_nc_u32_e32 v0, 1, v33
	v_lshl_add_u32 v1, v33, 4, v32
	s_delay_alu instid0(VALU_DEP_2)
	v_mov_b32_e32 v33, v0
	scratch_store_b128 v1, v[4:7], off
.LBB0_91:                               ;   in Loop: Header=BB0_6 Depth=1
	s_or_b32 exec_lo, exec_lo, s1
	s_mov_b32 s1, -1
                                        ; implicit-def: $vgpr6_vgpr7
                                        ; implicit-def: $vgpr2_vgpr3
.LBB0_92:                               ;   in Loop: Header=BB0_6 Depth=1
	s_and_not1_saveexec_b32 s0, s0
	s_cbranch_execz .LBB0_5
; %bb.93:                               ;   in Loop: Header=BB0_6 Depth=1
	s_xor_b32 s21, s16, -1
	s_mov_b32 s17, -1
	s_and_saveexec_b32 s16, s21
	s_cbranch_execz .LBB0_4
; %bb.94:                               ;   in Loop: Header=BB0_6 Depth=1
	v_mov_b32_e32 v8, -1
	s_mov_b32 s17, 0
	s_mov_b32 s21, exec_lo
	v_cmpx_ne_u32_e32 -1, v33
	s_cbranch_execz .LBB0_3
; %bb.95:                               ;   in Loop: Header=BB0_6 Depth=1
	v_lshl_add_u32 v0, v33, 4, 0
	v_add_nc_u32_e32 v8, -1, v33
	s_mov_b32 s17, exec_lo
	scratch_load_b128 v[0:3], v0, off
	s_branch .LBB0_3
.LBB0_96:
	s_mov_b32 s0, 0
                                        ; implicit-def: $vgpr31
	s_cbranch_execnz .LBB0_99
	s_branch .LBB0_100
.LBB0_97:
	s_mov_b32 s0, -1
                                        ; implicit-def: $vgpr31
	s_branch .LBB0_100
.LBB0_98:
	s_or_b32 exec_lo, exec_lo, s20
	s_mov_b32 s0, 0
	s_branch .LBB0_100
.LBB0_99:
	s_cmp_lg_u32 s19, 0
	s_mov_b32 s18, -1
	s_cselect_b32 s0, -1, 0
                                        ; implicit-def: $vgpr31
.LBB0_100:
	v_cvt_f64_i32_e32 v[0:1], v12
	v_add_nc_u32_e64 v30, 0, 16
	s_and_not1_b32 vcc_lo, exec_lo, s0
	s_delay_alu instid0(VALU_DEP_2)
	v_ldexp_f64 v[13:14], -v[0:1], -16
	v_fma_f64 v[15:16], 0xbef00000, v[0:1], -2.0
	s_cbranch_vccnz .LBB0_180
; %bb.101:
	v_dual_mov_b32 v0, s8 :: v_dual_mov_b32 v1, s9
	v_dual_mov_b32 v2, s10 :: v_dual_mov_b32 v3, s11
	v_dual_mov_b32 v33, 0 :: v_dual_mov_b32 v32, v12
	v_mov_b32_e32 v17, v12
	s_brev_b32 s12, 5
	s_brev_b32 s14, 1
	s_mov_b32 s16, 0
	s_mov_b32 s13, 0x3eb0c6f7
	;; [unrolled: 1-line block ×5, first 2 shown]
	scratch_store_b128 off, v[0:3], off
	s_branch .LBB0_104
.LBB0_102:                              ;   in Loop: Header=BB0_104 Depth=1
	s_or_b32 exec_lo, exec_lo, s0
	v_dual_mov_b32 v6, v17 :: v_dual_mov_b32 v31, v32
.LBB0_103:                              ;   in Loop: Header=BB0_104 Depth=1
	s_or_b32 exec_lo, exec_lo, s19
	v_cmp_eq_u32_e32 vcc_lo, -1, v34
	s_delay_alu instid0(VALU_DEP_2) | instskip(SKIP_2) | instid1(SALU_CYCLE_1)
	v_dual_mov_b32 v32, v31 :: v_dual_mov_b32 v17, v6
	v_mov_b32_e32 v33, v34
	s_or_b32 s18, vcc_lo, s18
	s_and_not1_b32 exec_lo, exec_lo, s18
	s_cbranch_execz .LBB0_179
.LBB0_104:                              ; =>This Inner Loop Header: Depth=1
	s_delay_alu instid0(VALU_DEP_1)
	v_lshl_add_u32 v35, v33, 4, 0
	v_add_nc_u32_e32 v34, -1, v33
	s_mov_b32 s1, 0
	s_mov_b32 s2, exec_lo
                                        ; implicit-def: $vgpr6
                                        ; implicit-def: $vgpr31
	scratch_load_b128 v[0:3], v35, off
	s_waitcnt vmcnt(0)
	v_add_f64 v[4:5], v[0:1], v[2:3]
	v_add_f64 v[8:9], v[2:3], -v[0:1]
	s_delay_alu instid0(VALU_DEP_2)
	v_cmp_u_f64_e64 s0, v[4:5], v[4:5]
	v_mul_f64 v[18:19], v[4:5], 0.5
	v_cmpx_o_f64_e32 v[4:5], v[4:5]
	s_xor_b32 s2, exec_lo, s2
	s_cbranch_execnz .LBB0_107
; %bb.105:                              ;   in Loop: Header=BB0_104 Depth=1
	s_and_not1_saveexec_b32 s2, s2
	s_cbranch_execnz .LBB0_118
.LBB0_106:                              ;   in Loop: Header=BB0_104 Depth=1
	s_or_b32 exec_lo, exec_lo, s2
	s_and_saveexec_b32 s19, s1
	s_cbranch_execz .LBB0_103
	s_branch .LBB0_119
.LBB0_107:                              ;   in Loop: Header=BB0_104 Depth=1
	v_mul_f64 v[18:19], v[4:5], 0.5
	s_mov_b32 s1, -1
	s_mov_b32 s19, 0
	s_mov_b32 s3, exec_lo
	s_delay_alu instid0(VALU_DEP_1) | instskip(NEXT) | instid1(VALU_DEP_1)
	v_mul_f64 v[4:5], |v[18:19]|, s[12:13]
	v_cmpx_nle_f64_e32 v[8:9], v[4:5]
	s_cbranch_execz .LBB0_115
; %bb.108:                              ;   in Loop: Header=BB0_104 Depth=1
	v_add_f64 v[20:21], v[0:1], -1.0
	v_add_f64 v[10:11], v[2:3], -1.0
	s_mov_b32 s1, exec_lo
	s_delay_alu instid0(VALU_DEP_2) | instskip(NEXT) | instid1(VALU_DEP_2)
	v_mul_f64 v[4:5], v[20:21], v[20:21]
	v_mul_f64 v[6:7], v[10:11], v[10:11]
	v_cmpx_le_f64_e32 0, v[20:21]
	s_xor_b32 s1, exec_lo, s1
; %bb.109:                              ;   in Loop: Header=BB0_104 Depth=1
	v_mul_f64 v[6:7], v[20:21], v[20:21]
	v_mul_f64 v[4:5], v[10:11], v[10:11]
                                        ; implicit-def: $vgpr10_vgpr11
; %bb.110:                              ;   in Loop: Header=BB0_104 Depth=1
	s_and_not1_saveexec_b32 s1, s1
	s_cbranch_execz .LBB0_114
; %bb.111:                              ;   in Loop: Header=BB0_104 Depth=1
	s_mov_b32 s19, exec_lo
	v_cmpx_ge_f64_e32 0, v[10:11]
	s_xor_b32 s19, exec_lo, s19
	s_delay_alu instid0(SALU_CYCLE_1)
	s_and_not1_saveexec_b32 s19, s19
; %bb.112:                              ;   in Loop: Header=BB0_104 Depth=1
	s_delay_alu instid0(VALU_DEP_2)
	v_max_f64 v[4:5], v[4:5], v[6:7]
	v_mov_b32_e32 v6, 0
	v_mov_b32_e32 v7, 0
; %bb.113:                              ;   in Loop: Header=BB0_104 Depth=1
	s_or_b32 exec_lo, exec_lo, s19
.LBB0_114:                              ;   in Loop: Header=BB0_104 Depth=1
	s_delay_alu instid0(SALU_CYCLE_1) | instskip(SKIP_3) | instid1(VALU_DEP_1)
	s_or_b32 exec_lo, exec_lo, s1
	v_mul_f64 v[10:11], v[13:14], v[0:1]
	v_mul_f64 v[20:21], v[13:14], v[2:3]
	s_mov_b32 s19, exec_lo
	v_min_f64 v[22:23], v[10:11], v[20:21]
	v_max_f64 v[10:11], v[10:11], v[20:21]
	s_delay_alu instid0(VALU_DEP_2) | instskip(NEXT) | instid1(VALU_DEP_2)
	v_add_f64 v[6:7], v[22:23], v[6:7]
	v_add_f64 v[4:5], v[10:11], v[4:5]
	s_delay_alu instid0(VALU_DEP_1) | instskip(SKIP_1) | instid1(VALU_DEP_2)
	v_add_f64 v[10:11], v[6:7], v[4:5]
	v_add_f64 v[4:5], v[4:5], -v[6:7]
	v_cmp_u_f64_e32 vcc_lo, v[10:11], v[10:11]
	s_delay_alu instid0(VALU_DEP_2) | instskip(NEXT) | instid1(VALU_DEP_1)
	v_cmp_ge_f64_e64 s1, s[12:13], v[4:5]
	s_or_b32 s1, vcc_lo, s1
	s_delay_alu instid0(SALU_CYCLE_1)
	s_or_not1_b32 s1, s1, exec_lo
.LBB0_115:                              ;   in Loop: Header=BB0_104 Depth=1
	s_or_b32 exec_lo, exec_lo, s3
                                        ; implicit-def: $vgpr6
                                        ; implicit-def: $vgpr31
	s_and_saveexec_b32 s3, s1
	s_delay_alu instid0(SALU_CYCLE_1)
	s_xor_b32 s1, exec_lo, s3
	s_cbranch_execz .LBB0_117
; %bb.116:                              ;   in Loop: Header=BB0_104 Depth=1
	v_ashrrev_i32_e32 v18, 31, v17
	v_add_nc_u32_e32 v6, 0x10000, v17
	s_and_not1_b32 s19, s19, exec_lo
	s_delay_alu instid0(VALU_DEP_2) | instskip(NEXT) | instid1(VALU_DEP_2)
	v_lshlrev_b64 v[4:5], 4, v[17:18]
	v_mov_b32_e32 v31, v6
                                        ; implicit-def: $vgpr18_vgpr19
	s_delay_alu instid0(VALU_DEP_2) | instskip(NEXT) | instid1(VALU_DEP_3)
	v_add_co_u32 v4, vcc_lo, s4, v4
	v_add_co_ci_u32_e32 v5, vcc_lo, s5, v5, vcc_lo
	global_store_b128 v[4:5], v[0:3], off
.LBB0_117:                              ;   in Loop: Header=BB0_104 Depth=1
	s_or_b32 exec_lo, exec_lo, s1
	s_delay_alu instid0(SALU_CYCLE_1)
	s_and_b32 s1, s19, exec_lo
	s_and_not1_saveexec_b32 s2, s2
	s_cbranch_execz .LBB0_106
.LBB0_118:                              ;   in Loop: Header=BB0_104 Depth=1
	s_or_b32 s1, s1, exec_lo
                                        ; implicit-def: $vgpr6
                                        ; implicit-def: $vgpr31
	s_or_b32 exec_lo, exec_lo, s2
	s_and_saveexec_b32 s19, s1
	s_cbranch_execz .LBB0_103
.LBB0_119:                              ;   in Loop: Header=BB0_104 Depth=1
	s_delay_alu instid0(VALU_DEP_2) | instskip(SKIP_1) | instid1(VALU_DEP_1)
	v_add_f64 v[10:11], v[18:19], -1.0
	s_mov_b32 s1, exec_lo
                                        ; implicit-def: $vgpr4_vgpr5
	v_mul_f64 v[6:7], v[10:11], v[10:11]
	v_cmpx_le_f64_e32 0, v[10:11]
	s_xor_b32 s1, exec_lo, s1
; %bb.120:                              ;   in Loop: Header=BB0_104 Depth=1
	v_mul_f64 v[4:5], v[10:11], v[10:11]
                                        ; implicit-def: $vgpr10_vgpr11
                                        ; implicit-def: $vgpr6_vgpr7
; %bb.121:                              ;   in Loop: Header=BB0_104 Depth=1
	s_or_saveexec_b32 s1, s1
	s_delay_alu instid0(VALU_DEP_1)
	v_dual_mov_b32 v21, v5 :: v_dual_mov_b32 v20, v4
	s_xor_b32 exec_lo, exec_lo, s1
; %bb.122:                              ;   in Loop: Header=BB0_104 Depth=1
	v_cmp_ge_f64_e32 vcc_lo, 0, v[10:11]
	v_dual_mov_b32 v21, v7 :: v_dual_mov_b32 v20, v6
	v_dual_cndmask_b32 v5, 0, v7 :: v_dual_cndmask_b32 v4, 0, v6
; %bb.123:                              ;   in Loop: Header=BB0_104 Depth=1
	s_or_b32 exec_lo, exec_lo, s1
	v_add_f64 v[6:7], v[0:1], v[0:1]
	v_add_f64 v[10:11], v[2:3], v[2:3]
	s_delay_alu instid0(VALU_DEP_3) | instskip(SKIP_1) | instid1(VALU_DEP_3)
	v_fma_f64 v[24:25], v[13:14], v[18:19], v[4:5]
	v_fma_f64 v[20:21], v[13:14], v[18:19], v[20:21]
                                        ; implicit-def: $sgpr2
                                        ; implicit-def: $vgpr28_vgpr29
                                        ; implicit-def: $vgpr26_vgpr27
	v_min_f64 v[22:23], v[6:7], v[10:11]
	v_max_f64 v[6:7], v[6:7], v[10:11]
	s_delay_alu instid0(VALU_DEP_2) | instskip(NEXT) | instid1(VALU_DEP_2)
	v_add_f64 v[10:11], v[15:16], v[22:23]
	v_add_f64 v[22:23], v[15:16], v[6:7]
	s_delay_alu instid0(VALU_DEP_2) | instskip(NEXT) | instid1(VALU_DEP_2)
	v_cmp_ge_f64_e32 vcc_lo, 0, v[10:11]
	v_cmp_le_f64_e64 s1, 0, v[22:23]
	s_delay_alu instid0(VALU_DEP_1) | instskip(NEXT) | instid1(SALU_CYCLE_1)
	s_and_b32 s1, vcc_lo, s1
	s_and_saveexec_b32 s3, s1
	s_delay_alu instid0(SALU_CYCLE_1)
	s_xor_b32 s20, exec_lo, s3
	s_cbranch_execz .LBB0_159
; %bb.124:                              ;   in Loop: Header=BB0_104 Depth=1
	v_cmp_neq_f64_e32 vcc_lo, 0, v[22:23]
	v_cmp_eq_f64_e64 s1, 0, v[22:23]
                                        ; implicit-def: $vgpr28_vgpr29
                                        ; implicit-def: $vgpr26_vgpr27
                                        ; implicit-def: $sgpr21
	s_mov_b32 s3, exec_lo
	v_cmpx_eq_f64_e32 0, v[10:11]
	s_xor_b32 s22, exec_lo, s3
	s_cbranch_execz .LBB0_136
; %bb.125:                              ;   in Loop: Header=BB0_104 Depth=1
	s_mov_b32 s2, 0
	s_mov_b32 s3, 0x7ff80000
	v_mov_b32_e32 v28, s2
	v_dual_mov_b32 v29, s3 :: v_dual_mov_b32 v26, s2
	v_mov_b32_e32 v27, s3
	s_and_saveexec_b32 s21, vcc_lo
	s_cbranch_execz .LBB0_135
; %bb.126:                              ;   in Loop: Header=BB0_104 Depth=1
	v_cmp_neq_f64_e32 vcc_lo, 0, v[24:25]
	v_cmp_neq_f64_e64 s2, 0, v[20:21]
	v_dual_mov_b32 v29, v25 :: v_dual_mov_b32 v28, v24
	v_dual_mov_b32 v27, v21 :: v_dual_mov_b32 v26, v20
	s_delay_alu instid0(VALU_DEP_3) | instskip(NEXT) | instid1(SALU_CYCLE_1)
	s_or_b32 s2, vcc_lo, s2
	s_and_saveexec_b32 s23, s2
	s_cbranch_execz .LBB0_134
; %bb.127:                              ;   in Loop: Header=BB0_104 Depth=1
	s_mov_b32 s24, exec_lo
                                        ; implicit-def: $sgpr2_sgpr3
                                        ; implicit-def: $vgpr28_vgpr29
	v_cmpx_ngt_f64_e32 0, v[20:21]
	s_xor_b32 s24, exec_lo, s24
	s_cbranch_execz .LBB0_131
; %bb.128:                              ;   in Loop: Header=BB0_104 Depth=1
	v_mov_b32_e32 v28, 0
	v_mov_b32_e32 v29, 0xfff00000
	s_mov_b32 s2, exec_lo
	v_cmpx_ngt_f64_e32 0, v[24:25]
; %bb.129:                              ;   in Loop: Header=BB0_104 Depth=1
	v_div_scale_f64 v[4:5], null, v[22:23], v[22:23], v[24:25]
	s_delay_alu instid0(VALU_DEP_1) | instskip(SKIP_2) | instid1(VALU_DEP_1)
	v_rcp_f64_e32 v[6:7], v[4:5]
	s_waitcnt_depctr 0xfff
	v_fma_f64 v[26:27], -v[4:5], v[6:7], 1.0
	v_fma_f64 v[6:7], v[6:7], v[26:27], v[6:7]
	s_delay_alu instid0(VALU_DEP_1) | instskip(NEXT) | instid1(VALU_DEP_1)
	v_fma_f64 v[26:27], -v[4:5], v[6:7], 1.0
	v_fma_f64 v[6:7], v[6:7], v[26:27], v[6:7]
	v_div_scale_f64 v[26:27], vcc_lo, v[24:25], v[22:23], v[24:25]
	s_delay_alu instid0(VALU_DEP_1) | instskip(NEXT) | instid1(VALU_DEP_1)
	v_mul_f64 v[28:29], v[26:27], v[6:7]
	v_fma_f64 v[4:5], -v[4:5], v[28:29], v[26:27]
	s_delay_alu instid0(VALU_DEP_1) | instskip(NEXT) | instid1(VALU_DEP_1)
	v_div_fmas_f64 v[4:5], v[4:5], v[6:7], v[28:29]
	v_div_fixup_f64 v[28:29], v[4:5], v[22:23], v[24:25]
; %bb.130:                              ;   in Loop: Header=BB0_104 Depth=1
	s_or_b32 exec_lo, exec_lo, s2
	s_mov_b32 s2, 0
	s_mov_b32 s3, 0x7ff00000
.LBB0_131:                              ;   in Loop: Header=BB0_104 Depth=1
	s_or_saveexec_b32 s24, s24
	v_dual_mov_b32 v27, s3 :: v_dual_mov_b32 v26, s2
	s_xor_b32 exec_lo, exec_lo, s24
	s_cbranch_execz .LBB0_133
; %bb.132:                              ;   in Loop: Header=BB0_104 Depth=1
	v_div_scale_f64 v[4:5], null, v[22:23], v[22:23], v[20:21]
	s_delay_alu instid0(VALU_DEP_1) | instskip(SKIP_2) | instid1(VALU_DEP_1)
	v_rcp_f64_e32 v[6:7], v[4:5]
	s_waitcnt_depctr 0xfff
	v_fma_f64 v[26:27], -v[4:5], v[6:7], 1.0
	v_fma_f64 v[6:7], v[6:7], v[26:27], v[6:7]
	s_delay_alu instid0(VALU_DEP_1) | instskip(NEXT) | instid1(VALU_DEP_1)
	v_fma_f64 v[26:27], -v[4:5], v[6:7], 1.0
	v_fma_f64 v[6:7], v[6:7], v[26:27], v[6:7]
	v_div_scale_f64 v[26:27], vcc_lo, v[20:21], v[22:23], v[20:21]
	s_delay_alu instid0(VALU_DEP_1) | instskip(NEXT) | instid1(VALU_DEP_1)
	v_mul_f64 v[28:29], v[26:27], v[6:7]
	v_fma_f64 v[4:5], -v[4:5], v[28:29], v[26:27]
	s_delay_alu instid0(VALU_DEP_1) | instskip(SKIP_2) | instid1(VALU_DEP_3)
	v_div_fmas_f64 v[4:5], v[4:5], v[6:7], v[28:29]
	v_mov_b32_e32 v28, 0
	v_mov_b32_e32 v29, 0xfff00000
	v_div_fixup_f64 v[26:27], v[4:5], v[22:23], v[20:21]
.LBB0_133:                              ;   in Loop: Header=BB0_104 Depth=1
	s_or_b32 exec_lo, exec_lo, s24
.LBB0_134:                              ;   in Loop: Header=BB0_104 Depth=1
	s_delay_alu instid0(SALU_CYCLE_1)
	s_or_b32 exec_lo, exec_lo, s23
.LBB0_135:                              ;   in Loop: Header=BB0_104 Depth=1
	s_delay_alu instid0(SALU_CYCLE_1)
	s_or_b32 exec_lo, exec_lo, s21
	s_mov_b32 s21, 0
.LBB0_136:                              ;   in Loop: Header=BB0_104 Depth=1
	s_and_not1_saveexec_b32 s22, s22
	s_cbranch_execz .LBB0_158
; %bb.137:                              ;   in Loop: Header=BB0_104 Depth=1
	v_cmp_neq_f64_e32 vcc_lo, 0, v[24:25]
	v_cmp_neq_f64_e64 s2, 0, v[20:21]
                                        ; implicit-def: $vgpr28_vgpr29
                                        ; implicit-def: $vgpr26_vgpr27
                                        ; implicit-def: $sgpr23
	s_delay_alu instid0(VALU_DEP_1) | instskip(NEXT) | instid1(VALU_DEP_4)
	s_or_b32 s24, vcc_lo, s2
	s_and_saveexec_b32 s2, s1
	s_delay_alu instid0(SALU_CYCLE_1)
	s_xor_b32 s1, exec_lo, s2
	s_cbranch_execz .LBB0_147
; %bb.138:                              ;   in Loop: Header=BB0_104 Depth=1
	v_dual_mov_b32 v29, v25 :: v_dual_mov_b32 v28, v24
	v_dual_mov_b32 v27, v21 :: v_dual_mov_b32 v26, v20
	s_and_saveexec_b32 s23, s24
	s_cbranch_execz .LBB0_146
; %bb.139:                              ;   in Loop: Header=BB0_104 Depth=1
	s_mov_b32 s25, exec_lo
                                        ; implicit-def: $vgpr26_vgpr27
                                        ; implicit-def: $sgpr2_sgpr3
	v_cmpx_ngt_f64_e32 0, v[20:21]
	s_xor_b32 s25, exec_lo, s25
	s_cbranch_execz .LBB0_143
; %bb.140:                              ;   in Loop: Header=BB0_104 Depth=1
	v_mov_b32_e32 v26, 0
	v_mov_b32_e32 v27, 0x7ff00000
	s_mov_b32 s2, exec_lo
	v_cmpx_ngt_f64_e32 0, v[24:25]
; %bb.141:                              ;   in Loop: Header=BB0_104 Depth=1
	v_div_scale_f64 v[4:5], null, v[10:11], v[10:11], v[24:25]
	s_delay_alu instid0(VALU_DEP_1) | instskip(SKIP_2) | instid1(VALU_DEP_1)
	v_rcp_f64_e32 v[6:7], v[4:5]
	s_waitcnt_depctr 0xfff
	v_fma_f64 v[26:27], -v[4:5], v[6:7], 1.0
	v_fma_f64 v[6:7], v[6:7], v[26:27], v[6:7]
	s_delay_alu instid0(VALU_DEP_1) | instskip(NEXT) | instid1(VALU_DEP_1)
	v_fma_f64 v[26:27], -v[4:5], v[6:7], 1.0
	v_fma_f64 v[6:7], v[6:7], v[26:27], v[6:7]
	v_div_scale_f64 v[26:27], vcc_lo, v[24:25], v[10:11], v[24:25]
	s_delay_alu instid0(VALU_DEP_1) | instskip(NEXT) | instid1(VALU_DEP_1)
	v_mul_f64 v[28:29], v[26:27], v[6:7]
	v_fma_f64 v[4:5], -v[4:5], v[28:29], v[26:27]
	s_delay_alu instid0(VALU_DEP_1) | instskip(NEXT) | instid1(VALU_DEP_1)
	v_div_fmas_f64 v[4:5], v[4:5], v[6:7], v[28:29]
	v_div_fixup_f64 v[26:27], v[4:5], v[10:11], v[24:25]
; %bb.142:                              ;   in Loop: Header=BB0_104 Depth=1
	s_or_b32 exec_lo, exec_lo, s2
	s_mov_b32 s2, 0
	s_mov_b32 s3, 0xfff00000
.LBB0_143:                              ;   in Loop: Header=BB0_104 Depth=1
	s_or_saveexec_b32 s25, s25
	v_dual_mov_b32 v29, s3 :: v_dual_mov_b32 v28, s2
	s_xor_b32 exec_lo, exec_lo, s25
	s_cbranch_execz .LBB0_145
; %bb.144:                              ;   in Loop: Header=BB0_104 Depth=1
	v_div_scale_f64 v[4:5], null, v[10:11], v[10:11], v[20:21]
	s_delay_alu instid0(VALU_DEP_1) | instskip(SKIP_2) | instid1(VALU_DEP_1)
	v_rcp_f64_e32 v[6:7], v[4:5]
	s_waitcnt_depctr 0xfff
	v_fma_f64 v[26:27], -v[4:5], v[6:7], 1.0
	v_fma_f64 v[6:7], v[6:7], v[26:27], v[6:7]
	s_delay_alu instid0(VALU_DEP_1) | instskip(NEXT) | instid1(VALU_DEP_1)
	v_fma_f64 v[26:27], -v[4:5], v[6:7], 1.0
	v_fma_f64 v[6:7], v[6:7], v[26:27], v[6:7]
	v_div_scale_f64 v[26:27], vcc_lo, v[20:21], v[10:11], v[20:21]
	s_delay_alu instid0(VALU_DEP_1) | instskip(NEXT) | instid1(VALU_DEP_1)
	v_mul_f64 v[28:29], v[26:27], v[6:7]
	v_fma_f64 v[4:5], -v[4:5], v[28:29], v[26:27]
	v_mov_b32_e32 v26, 0
	v_mov_b32_e32 v27, 0x7ff00000
	s_delay_alu instid0(VALU_DEP_3) | instskip(NEXT) | instid1(VALU_DEP_1)
	v_div_fmas_f64 v[4:5], v[4:5], v[6:7], v[28:29]
	v_div_fixup_f64 v[28:29], v[4:5], v[10:11], v[20:21]
.LBB0_145:                              ;   in Loop: Header=BB0_104 Depth=1
	s_or_b32 exec_lo, exec_lo, s25
.LBB0_146:                              ;   in Loop: Header=BB0_104 Depth=1
	s_delay_alu instid0(SALU_CYCLE_1)
	s_or_b32 exec_lo, exec_lo, s23
	s_mov_b32 s23, 0
.LBB0_147:                              ;   in Loop: Header=BB0_104 Depth=1
	s_and_not1_saveexec_b32 s1, s1
	s_cbranch_execz .LBB0_157
; %bb.148:                              ;   in Loop: Header=BB0_104 Depth=1
	v_dual_mov_b32 v29, v25 :: v_dual_mov_b32 v28, v24
	v_dual_mov_b32 v27, v21 :: v_dual_mov_b32 v26, v20
	s_mov_b32 s2, 0
	s_and_saveexec_b32 s25, s24
	s_cbranch_execz .LBB0_156
; %bb.149:                              ;   in Loop: Header=BB0_104 Depth=1
	s_mov_b32 s26, exec_lo
                                        ; implicit-def: $sgpr24
                                        ; implicit-def: $vgpr26_vgpr27
                                        ; implicit-def: $sgpr2_sgpr3
	v_cmpx_ngt_f64_e32 0, v[20:21]
	s_xor_b32 s26, exec_lo, s26
	s_cbranch_execz .LBB0_153
; %bb.150:                              ;   in Loop: Header=BB0_104 Depth=1
	v_mov_b32_e32 v26, 0
	v_mov_b32_e32 v27, 0x7ff00000
	s_mov_b32 s24, 0
	s_mov_b32 s2, exec_lo
	v_cmpx_ngt_f64_e32 0, v[24:25]
	s_cbranch_execz .LBB0_152
; %bb.151:                              ;   in Loop: Header=BB0_104 Depth=1
	v_div_scale_f64 v[4:5], null, v[10:11], v[10:11], v[24:25]
	s_mov_b32 s24, exec_lo
	s_delay_alu instid0(VALU_DEP_1) | instskip(SKIP_2) | instid1(VALU_DEP_1)
	v_rcp_f64_e32 v[6:7], v[4:5]
	s_waitcnt_depctr 0xfff
	v_fma_f64 v[26:27], -v[4:5], v[6:7], 1.0
	v_fma_f64 v[6:7], v[6:7], v[26:27], v[6:7]
	s_delay_alu instid0(VALU_DEP_1) | instskip(NEXT) | instid1(VALU_DEP_1)
	v_fma_f64 v[26:27], -v[4:5], v[6:7], 1.0
	v_fma_f64 v[6:7], v[6:7], v[26:27], v[6:7]
	v_div_scale_f64 v[26:27], vcc_lo, v[24:25], v[10:11], v[24:25]
	s_delay_alu instid0(VALU_DEP_1) | instskip(NEXT) | instid1(VALU_DEP_1)
	v_mul_f64 v[28:29], v[26:27], v[6:7]
	v_fma_f64 v[4:5], -v[4:5], v[28:29], v[26:27]
	s_delay_alu instid0(VALU_DEP_1) | instskip(NEXT) | instid1(VALU_DEP_1)
	v_div_fmas_f64 v[4:5], v[4:5], v[6:7], v[28:29]
	v_div_fixup_f64 v[26:27], v[4:5], v[10:11], v[24:25]
.LBB0_152:                              ;   in Loop: Header=BB0_104 Depth=1
	s_or_b32 exec_lo, exec_lo, s2
	s_mov_b32 s2, 0
	s_mov_b32 s3, 0xfff00000
	s_and_b32 s24, s24, exec_lo
.LBB0_153:                              ;   in Loop: Header=BB0_104 Depth=1
	s_or_saveexec_b32 s26, s26
	v_dual_mov_b32 v29, s3 :: v_dual_mov_b32 v28, s2
	s_xor_b32 exec_lo, exec_lo, s26
	s_cbranch_execz .LBB0_155
; %bb.154:                              ;   in Loop: Header=BB0_104 Depth=1
	v_div_scale_f64 v[4:5], null, v[22:23], v[22:23], v[20:21]
	s_or_b32 s24, s24, exec_lo
	s_delay_alu instid0(VALU_DEP_1) | instskip(SKIP_2) | instid1(VALU_DEP_1)
	v_rcp_f64_e32 v[6:7], v[4:5]
	s_waitcnt_depctr 0xfff
	v_fma_f64 v[26:27], -v[4:5], v[6:7], 1.0
	v_fma_f64 v[6:7], v[6:7], v[26:27], v[6:7]
	s_delay_alu instid0(VALU_DEP_1) | instskip(NEXT) | instid1(VALU_DEP_1)
	v_fma_f64 v[26:27], -v[4:5], v[6:7], 1.0
	v_fma_f64 v[6:7], v[6:7], v[26:27], v[6:7]
	v_div_scale_f64 v[26:27], vcc_lo, v[20:21], v[22:23], v[20:21]
	s_delay_alu instid0(VALU_DEP_1) | instskip(NEXT) | instid1(VALU_DEP_1)
	v_mul_f64 v[28:29], v[26:27], v[6:7]
	v_fma_f64 v[4:5], -v[4:5], v[28:29], v[26:27]
	s_delay_alu instid0(VALU_DEP_1) | instskip(SKIP_2) | instid1(VALU_DEP_3)
	v_div_fmas_f64 v[4:5], v[4:5], v[6:7], v[28:29]
	v_mov_b32_e32 v28, 0
	v_mov_b32_e32 v29, 0xfff00000
	v_div_fixup_f64 v[26:27], v[4:5], v[22:23], v[20:21]
.LBB0_155:                              ;   in Loop: Header=BB0_104 Depth=1
	s_or_b32 exec_lo, exec_lo, s26
	s_delay_alu instid0(SALU_CYCLE_1)
	s_and_b32 s2, s24, exec_lo
.LBB0_156:                              ;   in Loop: Header=BB0_104 Depth=1
	s_or_b32 exec_lo, exec_lo, s25
	s_delay_alu instid0(SALU_CYCLE_1) | instskip(SKIP_1) | instid1(SALU_CYCLE_1)
	s_and_not1_b32 s3, s23, exec_lo
	s_and_b32 s2, s2, exec_lo
	s_or_b32 s23, s3, s2
.LBB0_157:                              ;   in Loop: Header=BB0_104 Depth=1
	s_or_b32 exec_lo, exec_lo, s1
	s_delay_alu instid0(SALU_CYCLE_1) | instskip(SKIP_1) | instid1(SALU_CYCLE_1)
	s_and_not1_b32 s1, s21, exec_lo
	s_and_b32 s2, s23, exec_lo
	s_or_b32 s21, s1, s2
.LBB0_158:                              ;   in Loop: Header=BB0_104 Depth=1
	s_or_b32 exec_lo, exec_lo, s22
	s_delay_alu instid0(SALU_CYCLE_1)
	s_and_b32 s2, s21, exec_lo
.LBB0_159:                              ;   in Loop: Header=BB0_104 Depth=1
	s_and_not1_saveexec_b32 s3, s20
	s_cbranch_execz .LBB0_165
; %bb.160:                              ;   in Loop: Header=BB0_104 Depth=1
	v_cmp_gt_f64_e32 vcc_lo, 0, v[22:23]
	v_dual_mov_b32 v6, v22 :: v_dual_mov_b32 v7, v23
	v_dual_mov_b32 v4, v10 :: v_dual_mov_b32 v5, v11
	s_mov_b32 s20, exec_lo
	v_cmpx_ngt_f64_e32 0, v[20:21]
	s_cbranch_execz .LBB0_164
; %bb.161:                              ;   in Loop: Header=BB0_104 Depth=1
	v_dual_mov_b32 v4, v22 :: v_dual_mov_b32 v5, v23
	v_dual_mov_b32 v6, v10 :: v_dual_mov_b32 v7, v11
	s_mov_b32 s21, exec_lo
	v_cmpx_gt_f64_e32 0, v[24:25]
; %bb.162:                              ;   in Loop: Header=BB0_104 Depth=1
	v_dual_cndmask_b32 v5, v11, v23 :: v_dual_cndmask_b32 v4, v10, v22
	s_delay_alu instid0(VALU_DEP_1)
	v_dual_mov_b32 v7, v5 :: v_dual_mov_b32 v6, v4
; %bb.163:                              ;   in Loop: Header=BB0_104 Depth=1
	s_or_b32 exec_lo, exec_lo, s21
.LBB0_164:                              ;   in Loop: Header=BB0_104 Depth=1
	s_delay_alu instid0(SALU_CYCLE_1) | instskip(SKIP_3) | instid1(VALU_DEP_2)
	s_or_b32 exec_lo, exec_lo, s20
	v_dual_cndmask_b32 v27, v25, v21 :: v_dual_cndmask_b32 v26, v24, v20
	v_dual_cndmask_b32 v37, v21, v25 :: v_dual_cndmask_b32 v36, v20, v24
	s_and_not1_b32 s2, s2, exec_lo
	v_div_scale_f64 v[28:29], null, v[4:5], v[4:5], v[26:27]
	s_delay_alu instid0(VALU_DEP_2) | instskip(SKIP_1) | instid1(VALU_DEP_3)
	v_div_scale_f64 v[38:39], null, v[6:7], v[6:7], v[36:37]
	v_div_scale_f64 v[48:49], vcc_lo, v[26:27], v[4:5], v[26:27]
	v_rcp_f64_e32 v[40:41], v[28:29]
	s_delay_alu instid0(VALU_DEP_2) | instskip(SKIP_3) | instid1(VALU_DEP_2)
	v_rcp_f64_e32 v[42:43], v[38:39]
	s_waitcnt_depctr 0xfff
	v_fma_f64 v[44:45], -v[28:29], v[40:41], 1.0
	v_fma_f64 v[46:47], -v[38:39], v[42:43], 1.0
	v_fma_f64 v[40:41], v[40:41], v[44:45], v[40:41]
	s_delay_alu instid0(VALU_DEP_2) | instskip(NEXT) | instid1(VALU_DEP_2)
	v_fma_f64 v[42:43], v[42:43], v[46:47], v[42:43]
	v_fma_f64 v[44:45], -v[28:29], v[40:41], 1.0
	s_delay_alu instid0(VALU_DEP_2) | instskip(NEXT) | instid1(VALU_DEP_2)
	v_fma_f64 v[46:47], -v[38:39], v[42:43], 1.0
	v_fma_f64 v[40:41], v[40:41], v[44:45], v[40:41]
	v_div_scale_f64 v[44:45], s1, v[36:37], v[6:7], v[36:37]
	s_delay_alu instid0(VALU_DEP_3) | instskip(NEXT) | instid1(VALU_DEP_3)
	v_fma_f64 v[42:43], v[42:43], v[46:47], v[42:43]
	v_mul_f64 v[46:47], v[48:49], v[40:41]
	s_delay_alu instid0(VALU_DEP_2) | instskip(NEXT) | instid1(VALU_DEP_2)
	v_mul_f64 v[50:51], v[44:45], v[42:43]
	v_fma_f64 v[28:29], -v[28:29], v[46:47], v[48:49]
	s_delay_alu instid0(VALU_DEP_2) | instskip(NEXT) | instid1(VALU_DEP_2)
	v_fma_f64 v[38:39], -v[38:39], v[50:51], v[44:45]
	v_div_fmas_f64 v[28:29], v[28:29], v[40:41], v[46:47]
	s_mov_b32 vcc_lo, s1
	s_delay_alu instid0(VALU_DEP_2) | instskip(NEXT) | instid1(VALU_DEP_2)
	v_div_fmas_f64 v[38:39], v[38:39], v[42:43], v[50:51]
	v_div_fixup_f64 v[28:29], v[28:29], v[4:5], v[26:27]
	s_delay_alu instid0(VALU_DEP_2)
	v_div_fixup_f64 v[26:27], v[38:39], v[6:7], v[36:37]
.LBB0_165:                              ;   in Loop: Header=BB0_104 Depth=1
	s_or_b32 exec_lo, exec_lo, s3
	v_mov_b32_e32 v6, s16
	v_mov_b32_e32 v7, s17
	s_delay_alu instid0(VALU_DEP_1)
	v_dual_mov_b32 v4, v6 :: v_dual_mov_b32 v5, v7
	s_and_saveexec_b32 s1, s2
	s_cbranch_execz .LBB0_171
; %bb.166:                              ;   in Loop: Header=BB0_104 Depth=1
	s_mov_b32 s3, exec_lo
                                        ; implicit-def: $vgpr4_vgpr5
	v_cmpx_ngt_f64_e32 0, v[20:21]
	s_xor_b32 s3, exec_lo, s3
; %bb.167:                              ;   in Loop: Header=BB0_104 Depth=1
	v_div_scale_f64 v[4:5], null, v[22:23], v[22:23], v[24:25]
	s_delay_alu instid0(VALU_DEP_1) | instskip(SKIP_2) | instid1(VALU_DEP_1)
	v_rcp_f64_e32 v[6:7], v[4:5]
	s_waitcnt_depctr 0xfff
	v_fma_f64 v[10:11], -v[4:5], v[6:7], 1.0
	v_fma_f64 v[6:7], v[6:7], v[10:11], v[6:7]
	s_delay_alu instid0(VALU_DEP_1) | instskip(NEXT) | instid1(VALU_DEP_1)
	v_fma_f64 v[10:11], -v[4:5], v[6:7], 1.0
	v_fma_f64 v[6:7], v[6:7], v[10:11], v[6:7]
	v_div_scale_f64 v[10:11], vcc_lo, v[24:25], v[22:23], v[24:25]
	s_delay_alu instid0(VALU_DEP_1) | instskip(NEXT) | instid1(VALU_DEP_1)
	v_mul_f64 v[20:21], v[10:11], v[6:7]
	v_fma_f64 v[4:5], -v[4:5], v[20:21], v[10:11]
                                        ; implicit-def: $vgpr10_vgpr11
	s_delay_alu instid0(VALU_DEP_1) | instskip(NEXT) | instid1(VALU_DEP_1)
	v_div_fmas_f64 v[4:5], v[4:5], v[6:7], v[20:21]
                                        ; implicit-def: $vgpr20_vgpr21
	v_div_fixup_f64 v[4:5], v[4:5], v[22:23], v[24:25]
; %bb.168:                              ;   in Loop: Header=BB0_104 Depth=1
	s_and_not1_saveexec_b32 s3, s3
; %bb.169:                              ;   in Loop: Header=BB0_104 Depth=1
	v_div_scale_f64 v[4:5], null, v[10:11], v[10:11], v[20:21]
	s_delay_alu instid0(VALU_DEP_1) | instskip(SKIP_2) | instid1(VALU_DEP_1)
	v_rcp_f64_e32 v[6:7], v[4:5]
	s_waitcnt_depctr 0xfff
	v_fma_f64 v[22:23], -v[4:5], v[6:7], 1.0
	v_fma_f64 v[6:7], v[6:7], v[22:23], v[6:7]
	s_delay_alu instid0(VALU_DEP_1) | instskip(NEXT) | instid1(VALU_DEP_1)
	v_fma_f64 v[22:23], -v[4:5], v[6:7], 1.0
	v_fma_f64 v[6:7], v[6:7], v[22:23], v[6:7]
	v_div_scale_f64 v[22:23], vcc_lo, v[20:21], v[10:11], v[20:21]
	s_delay_alu instid0(VALU_DEP_1) | instskip(NEXT) | instid1(VALU_DEP_1)
	v_mul_f64 v[24:25], v[22:23], v[6:7]
	v_fma_f64 v[4:5], -v[4:5], v[24:25], v[22:23]
	s_delay_alu instid0(VALU_DEP_1) | instskip(NEXT) | instid1(VALU_DEP_1)
	v_div_fmas_f64 v[4:5], v[4:5], v[6:7], v[24:25]
	v_div_fixup_f64 v[4:5], v[4:5], v[10:11], v[20:21]
; %bb.170:                              ;   in Loop: Header=BB0_104 Depth=1
	s_or_b32 exec_lo, exec_lo, s3
	v_add_f64 v[6:7], 0xfff00000, v[18:19]
	s_delay_alu instid0(VALU_DEP_2) | instskip(SKIP_2) | instid1(VALU_DEP_2)
	v_add_f64 v[4:5], v[18:19], -v[4:5]
	v_max_f64 v[10:11], v[0:1], v[0:1]
	v_max_f64 v[20:21], v[2:3], v[2:3]
	;; [unrolled: 1-line block ×3, first 2 shown]
	s_delay_alu instid0(VALU_DEP_2) | instskip(NEXT) | instid1(VALU_DEP_1)
	v_min_f64 v[10:11], v[4:5], v[20:21]
	v_cmp_nle_f64_e32 vcc_lo, v[6:7], v[10:11]
	v_cndmask_b32_e64 v5, v7, 0x7ff80000, vcc_lo
	v_cndmask_b32_e64 v4, v6, 0, vcc_lo
	;; [unrolled: 1-line block ×4, first 2 shown]
.LBB0_171:                              ;   in Loop: Header=BB0_104 Depth=1
	s_or_b32 exec_lo, exec_lo, s1
	s_delay_alu instid0(VALU_DEP_4) | instskip(SKIP_3) | instid1(VALU_DEP_2)
	v_add_f64 v[10:11], v[18:19], -v[26:27]
	v_add_f64 v[20:21], v[18:19], -v[28:29]
	v_max_f64 v[22:23], v[0:1], v[0:1]
	v_max_f64 v[24:25], v[2:3], v[2:3]
	;; [unrolled: 1-line block ×3, first 2 shown]
	s_delay_alu instid0(VALU_DEP_2) | instskip(SKIP_1) | instid1(VALU_DEP_2)
	v_min_f64 v[20:21], v[20:21], v[24:25]
	v_mul_f64 v[22:23], v[8:9], s[14:15]
	v_cmp_nle_f64_e32 vcc_lo, v[10:11], v[20:21]
	s_delay_alu instid0(VALU_DEP_2) | instskip(NEXT) | instid1(VALU_DEP_3)
	v_cndmask_b32_e64 v23, v23, 0, s0
	v_cndmask_b32_e64 v22, v22, 0, s0
	v_cndmask_b32_e64 v9, v11, 0x7ff80000, vcc_lo
	v_cndmask_b32_e64 v8, v10, 0, vcc_lo
	;; [unrolled: 1-line block ×4, first 2 shown]
	s_delay_alu instid0(VALU_DEP_1) | instskip(SKIP_1) | instid1(VALU_DEP_2)
	v_add_f64 v[20:21], v[8:9], v[10:11]
	v_add_f64 v[24:25], v[10:11], -v[8:9]
	v_cmp_o_f64_e32 vcc_lo, v[20:21], v[20:21]
	s_delay_alu instid0(VALU_DEP_2) | instskip(NEXT) | instid1(VALU_DEP_1)
	v_cmp_gt_f64_e64 s0, v[24:25], v[22:23]
	s_and_b32 s1, vcc_lo, s0
                                        ; implicit-def: $sgpr0
	s_delay_alu instid0(SALU_CYCLE_1) | instskip(NEXT) | instid1(SALU_CYCLE_1)
	s_xor_b32 s20, s1, -1
	s_and_saveexec_b32 s3, s20
; %bb.172:                              ;   in Loop: Header=BB0_104 Depth=1
	v_add_f64 v[24:25], v[4:5], v[6:7]
	v_add_f64 v[26:27], v[6:7], -v[4:5]
	s_and_not1_b32 s1, s1, exec_lo
	s_delay_alu instid0(VALU_DEP_2) | instskip(NEXT) | instid1(VALU_DEP_2)
	v_cmp_o_f64_e32 vcc_lo, v[24:25], v[24:25]
	v_cmp_gt_f64_e64 s0, v[26:27], v[22:23]
	s_delay_alu instid0(VALU_DEP_1) | instskip(NEXT) | instid1(SALU_CYCLE_1)
	s_and_b32 s0, vcc_lo, s0
	s_and_b32 s20, s0, exec_lo
	s_and_b32 s0, s2, exec_lo
	s_or_b32 s1, s1, s20
; %bb.173:                              ;   in Loop: Header=BB0_104 Depth=1
	s_or_b32 exec_lo, exec_lo, s3
	s_and_saveexec_b32 s2, s1
; %bb.174:                              ;   in Loop: Header=BB0_104 Depth=1
	v_add_f64 v[20:21], v[0:1], v[18:19]
	v_dual_mov_b32 v4, v18 :: v_dual_mov_b32 v5, v19
	v_dual_mov_b32 v7, v3 :: v_dual_mov_b32 v6, v2
	;; [unrolled: 1-line block ×4, first 2 shown]
	s_or_b32 s0, s0, exec_lo
; %bb.175:                              ;   in Loop: Header=BB0_104 Depth=1
	s_or_b32 exec_lo, exec_lo, s2
	s_delay_alu instid0(SALU_CYCLE_1)
	s_mov_b32 s1, exec_lo
	v_cmpx_o_f64_e32 v[20:21], v[20:21]
	s_cbranch_execz .LBB0_177
; %bb.176:                              ;   in Loop: Header=BB0_104 Depth=1
	v_mov_b32_e32 v34, v33
	scratch_store_b128 v35, v[8:11], off
.LBB0_177:                              ;   in Loop: Header=BB0_104 Depth=1
	s_or_b32 exec_lo, exec_lo, s1
	v_add_f64 v[0:1], v[4:5], v[6:7]
	s_delay_alu instid0(VALU_DEP_1) | instskip(SKIP_1) | instid1(SALU_CYCLE_1)
	v_cmp_o_f64_e32 vcc_lo, v[0:1], v[0:1]
	s_and_b32 s1, vcc_lo, s0
	s_and_saveexec_b32 s0, s1
	s_cbranch_execz .LBB0_102
; %bb.178:                              ;   in Loop: Header=BB0_104 Depth=1
	v_add_nc_u32_e32 v0, 1, v34
	v_lshl_add_u32 v1, v34, 4, v30
	s_delay_alu instid0(VALU_DEP_2)
	v_mov_b32_e32 v34, v0
	scratch_store_b128 v1, v[4:7], off
	s_branch .LBB0_102
.LBB0_179:
	s_or_b32 exec_lo, exec_lo, s18
	s_mov_b32 s18, 0
.LBB0_180:
	s_delay_alu instid0(SALU_CYCLE_1)
	s_and_b32 vcc_lo, exec_lo, s18
	s_cbranch_vccz .LBB0_260
; %bb.181:
	v_dual_mov_b32 v0, s8 :: v_dual_mov_b32 v1, s9
	v_dual_mov_b32 v2, s10 :: v_dual_mov_b32 v3, s11
	;; [unrolled: 1-line block ×3, first 2 shown]
	v_mov_b32_e32 v17, v12
	s_brev_b32 s8, 5
	s_brev_b32 s10, 1
	s_mov_b32 s12, 0
	s_mov_b32 s9, 0x3eb0c6f7
	;; [unrolled: 1-line block ×5, first 2 shown]
	scratch_store_b128 off, v[0:3], off
	s_branch .LBB0_184
.LBB0_182:                              ;   in Loop: Header=BB0_184 Depth=1
	s_or_b32 exec_lo, exec_lo, s0
	v_dual_mov_b32 v6, v17 :: v_dual_mov_b32 v31, v32
.LBB0_183:                              ;   in Loop: Header=BB0_184 Depth=1
	s_or_b32 exec_lo, exec_lo, s15
	v_cmp_eq_u32_e32 vcc_lo, -1, v34
	s_delay_alu instid0(VALU_DEP_2) | instskip(SKIP_2) | instid1(SALU_CYCLE_1)
	v_dual_mov_b32 v32, v31 :: v_dual_mov_b32 v17, v6
	v_mov_b32_e32 v33, v34
	s_or_b32 s14, vcc_lo, s14
	s_and_not1_b32 exec_lo, exec_lo, s14
	s_cbranch_execz .LBB0_259
.LBB0_184:                              ; =>This Inner Loop Header: Depth=1
	s_delay_alu instid0(VALU_DEP_1)
	v_lshl_add_u32 v35, v33, 4, 0
	v_add_nc_u32_e32 v34, -1, v33
	s_mov_b32 s1, 0
	s_mov_b32 s2, exec_lo
                                        ; implicit-def: $vgpr6
                                        ; implicit-def: $vgpr31
	scratch_load_b128 v[0:3], v35, off
	s_waitcnt vmcnt(0)
	v_add_f64 v[4:5], v[0:1], v[2:3]
	v_add_f64 v[8:9], v[2:3], -v[0:1]
	s_delay_alu instid0(VALU_DEP_2)
	v_cmp_u_f64_e64 s0, v[4:5], v[4:5]
	v_mul_f64 v[18:19], v[4:5], 0.5
	v_cmpx_o_f64_e32 v[4:5], v[4:5]
	s_xor_b32 s2, exec_lo, s2
	s_cbranch_execnz .LBB0_187
; %bb.185:                              ;   in Loop: Header=BB0_184 Depth=1
	s_and_not1_saveexec_b32 s2, s2
	s_cbranch_execnz .LBB0_198
.LBB0_186:                              ;   in Loop: Header=BB0_184 Depth=1
	s_or_b32 exec_lo, exec_lo, s2
	s_and_saveexec_b32 s15, s1
	s_cbranch_execz .LBB0_183
	s_branch .LBB0_199
.LBB0_187:                              ;   in Loop: Header=BB0_184 Depth=1
	v_mul_f64 v[18:19], v[4:5], 0.5
	s_mov_b32 s1, -1
	s_mov_b32 s15, 0
	s_mov_b32 s3, exec_lo
	s_delay_alu instid0(VALU_DEP_1) | instskip(NEXT) | instid1(VALU_DEP_1)
	v_mul_f64 v[4:5], |v[18:19]|, s[8:9]
	v_cmpx_nle_f64_e32 v[8:9], v[4:5]
	s_cbranch_execz .LBB0_195
; %bb.188:                              ;   in Loop: Header=BB0_184 Depth=1
	v_add_f64 v[20:21], v[0:1], -1.0
	v_add_f64 v[10:11], v[2:3], -1.0
	s_mov_b32 s1, exec_lo
	s_delay_alu instid0(VALU_DEP_2) | instskip(NEXT) | instid1(VALU_DEP_2)
	v_mul_f64 v[4:5], v[20:21], v[20:21]
	v_mul_f64 v[6:7], v[10:11], v[10:11]
	v_cmpx_le_f64_e32 0, v[20:21]
	s_xor_b32 s1, exec_lo, s1
; %bb.189:                              ;   in Loop: Header=BB0_184 Depth=1
	v_mul_f64 v[6:7], v[20:21], v[20:21]
	v_mul_f64 v[4:5], v[10:11], v[10:11]
                                        ; implicit-def: $vgpr10_vgpr11
; %bb.190:                              ;   in Loop: Header=BB0_184 Depth=1
	s_and_not1_saveexec_b32 s1, s1
	s_cbranch_execz .LBB0_194
; %bb.191:                              ;   in Loop: Header=BB0_184 Depth=1
	s_mov_b32 s15, exec_lo
	v_cmpx_ge_f64_e32 0, v[10:11]
	s_xor_b32 s15, exec_lo, s15
	s_delay_alu instid0(SALU_CYCLE_1)
	s_and_not1_saveexec_b32 s15, s15
; %bb.192:                              ;   in Loop: Header=BB0_184 Depth=1
	s_delay_alu instid0(VALU_DEP_2)
	v_max_f64 v[4:5], v[4:5], v[6:7]
	v_mov_b32_e32 v6, 0
	v_mov_b32_e32 v7, 0
; %bb.193:                              ;   in Loop: Header=BB0_184 Depth=1
	s_or_b32 exec_lo, exec_lo, s15
.LBB0_194:                              ;   in Loop: Header=BB0_184 Depth=1
	s_delay_alu instid0(SALU_CYCLE_1) | instskip(SKIP_3) | instid1(VALU_DEP_1)
	s_or_b32 exec_lo, exec_lo, s1
	v_mul_f64 v[10:11], v[13:14], v[0:1]
	v_mul_f64 v[20:21], v[13:14], v[2:3]
	s_mov_b32 s15, exec_lo
	v_min_f64 v[22:23], v[10:11], v[20:21]
	v_max_f64 v[10:11], v[10:11], v[20:21]
	s_delay_alu instid0(VALU_DEP_2) | instskip(NEXT) | instid1(VALU_DEP_2)
	v_add_f64 v[6:7], v[22:23], v[6:7]
	v_add_f64 v[4:5], v[10:11], v[4:5]
	s_delay_alu instid0(VALU_DEP_1) | instskip(SKIP_1) | instid1(VALU_DEP_2)
	v_add_f64 v[10:11], v[6:7], v[4:5]
	v_add_f64 v[4:5], v[4:5], -v[6:7]
	v_cmp_u_f64_e32 vcc_lo, v[10:11], v[10:11]
	s_delay_alu instid0(VALU_DEP_2) | instskip(NEXT) | instid1(VALU_DEP_1)
	v_cmp_ge_f64_e64 s1, s[8:9], v[4:5]
	s_or_b32 s1, vcc_lo, s1
	s_delay_alu instid0(SALU_CYCLE_1)
	s_or_not1_b32 s1, s1, exec_lo
.LBB0_195:                              ;   in Loop: Header=BB0_184 Depth=1
	s_or_b32 exec_lo, exec_lo, s3
                                        ; implicit-def: $vgpr6
                                        ; implicit-def: $vgpr31
	s_and_saveexec_b32 s3, s1
	s_delay_alu instid0(SALU_CYCLE_1)
	s_xor_b32 s1, exec_lo, s3
	s_cbranch_execz .LBB0_197
; %bb.196:                              ;   in Loop: Header=BB0_184 Depth=1
	v_ashrrev_i32_e32 v18, 31, v17
	v_add_nc_u32_e32 v6, 0x10000, v17
	s_and_not1_b32 s15, s15, exec_lo
	s_delay_alu instid0(VALU_DEP_2) | instskip(NEXT) | instid1(VALU_DEP_2)
	v_lshlrev_b64 v[4:5], 4, v[17:18]
	v_mov_b32_e32 v31, v6
                                        ; implicit-def: $vgpr18_vgpr19
	s_delay_alu instid0(VALU_DEP_2) | instskip(NEXT) | instid1(VALU_DEP_3)
	v_add_co_u32 v4, vcc_lo, s4, v4
	v_add_co_ci_u32_e32 v5, vcc_lo, s5, v5, vcc_lo
	global_store_b128 v[4:5], v[0:3], off
.LBB0_197:                              ;   in Loop: Header=BB0_184 Depth=1
	s_or_b32 exec_lo, exec_lo, s1
	s_delay_alu instid0(SALU_CYCLE_1)
	s_and_b32 s1, s15, exec_lo
	s_and_not1_saveexec_b32 s2, s2
	s_cbranch_execz .LBB0_186
.LBB0_198:                              ;   in Loop: Header=BB0_184 Depth=1
	s_or_b32 s1, s1, exec_lo
                                        ; implicit-def: $vgpr6
                                        ; implicit-def: $vgpr31
	s_or_b32 exec_lo, exec_lo, s2
	s_and_saveexec_b32 s15, s1
	s_cbranch_execz .LBB0_183
.LBB0_199:                              ;   in Loop: Header=BB0_184 Depth=1
	s_delay_alu instid0(VALU_DEP_2) | instskip(SKIP_1) | instid1(VALU_DEP_1)
	v_add_f64 v[10:11], v[18:19], -1.0
	s_mov_b32 s1, exec_lo
                                        ; implicit-def: $vgpr4_vgpr5
	v_mul_f64 v[6:7], v[10:11], v[10:11]
	v_cmpx_le_f64_e32 0, v[10:11]
	s_xor_b32 s1, exec_lo, s1
; %bb.200:                              ;   in Loop: Header=BB0_184 Depth=1
	v_mul_f64 v[4:5], v[10:11], v[10:11]
                                        ; implicit-def: $vgpr10_vgpr11
                                        ; implicit-def: $vgpr6_vgpr7
; %bb.201:                              ;   in Loop: Header=BB0_184 Depth=1
	s_or_saveexec_b32 s1, s1
	s_delay_alu instid0(VALU_DEP_1)
	v_dual_mov_b32 v21, v5 :: v_dual_mov_b32 v20, v4
	s_xor_b32 exec_lo, exec_lo, s1
; %bb.202:                              ;   in Loop: Header=BB0_184 Depth=1
	v_cmp_ge_f64_e32 vcc_lo, 0, v[10:11]
	v_dual_mov_b32 v21, v7 :: v_dual_mov_b32 v20, v6
	v_dual_cndmask_b32 v5, 0, v7 :: v_dual_cndmask_b32 v4, 0, v6
; %bb.203:                              ;   in Loop: Header=BB0_184 Depth=1
	s_or_b32 exec_lo, exec_lo, s1
	v_add_f64 v[6:7], v[0:1], v[0:1]
	v_add_f64 v[10:11], v[2:3], v[2:3]
	s_delay_alu instid0(VALU_DEP_3) | instskip(SKIP_1) | instid1(VALU_DEP_3)
	v_fma_f64 v[24:25], v[13:14], v[18:19], v[4:5]
	v_fma_f64 v[20:21], v[13:14], v[18:19], v[20:21]
                                        ; implicit-def: $sgpr2
                                        ; implicit-def: $vgpr28_vgpr29
                                        ; implicit-def: $vgpr26_vgpr27
	v_min_f64 v[22:23], v[6:7], v[10:11]
	v_max_f64 v[6:7], v[6:7], v[10:11]
	s_delay_alu instid0(VALU_DEP_2) | instskip(NEXT) | instid1(VALU_DEP_2)
	v_add_f64 v[10:11], v[15:16], v[22:23]
	v_add_f64 v[22:23], v[15:16], v[6:7]
	s_delay_alu instid0(VALU_DEP_2) | instskip(NEXT) | instid1(VALU_DEP_2)
	v_cmp_ge_f64_e32 vcc_lo, 0, v[10:11]
	v_cmp_le_f64_e64 s1, 0, v[22:23]
	s_delay_alu instid0(VALU_DEP_1) | instskip(NEXT) | instid1(SALU_CYCLE_1)
	s_and_b32 s1, vcc_lo, s1
	s_and_saveexec_b32 s3, s1
	s_delay_alu instid0(SALU_CYCLE_1)
	s_xor_b32 s16, exec_lo, s3
	s_cbranch_execz .LBB0_239
; %bb.204:                              ;   in Loop: Header=BB0_184 Depth=1
	v_cmp_neq_f64_e32 vcc_lo, 0, v[22:23]
	v_cmp_eq_f64_e64 s1, 0, v[22:23]
                                        ; implicit-def: $vgpr28_vgpr29
                                        ; implicit-def: $vgpr26_vgpr27
                                        ; implicit-def: $sgpr17
	s_mov_b32 s3, exec_lo
	v_cmpx_eq_f64_e32 0, v[10:11]
	s_xor_b32 s18, exec_lo, s3
	s_cbranch_execz .LBB0_216
; %bb.205:                              ;   in Loop: Header=BB0_184 Depth=1
	s_mov_b32 s2, 0
	s_mov_b32 s3, 0x7ff80000
	v_mov_b32_e32 v28, s2
	v_dual_mov_b32 v29, s3 :: v_dual_mov_b32 v26, s2
	v_mov_b32_e32 v27, s3
	s_and_saveexec_b32 s17, vcc_lo
	s_cbranch_execz .LBB0_215
; %bb.206:                              ;   in Loop: Header=BB0_184 Depth=1
	v_cmp_neq_f64_e32 vcc_lo, 0, v[24:25]
	v_cmp_neq_f64_e64 s2, 0, v[20:21]
	v_dual_mov_b32 v29, v25 :: v_dual_mov_b32 v28, v24
	v_dual_mov_b32 v27, v21 :: v_dual_mov_b32 v26, v20
	s_delay_alu instid0(VALU_DEP_3) | instskip(NEXT) | instid1(SALU_CYCLE_1)
	s_or_b32 s2, vcc_lo, s2
	s_and_saveexec_b32 s19, s2
	s_cbranch_execz .LBB0_214
; %bb.207:                              ;   in Loop: Header=BB0_184 Depth=1
	s_mov_b32 s20, exec_lo
                                        ; implicit-def: $sgpr2_sgpr3
                                        ; implicit-def: $vgpr28_vgpr29
	v_cmpx_ngt_f64_e32 0, v[20:21]
	s_xor_b32 s20, exec_lo, s20
	s_cbranch_execz .LBB0_211
; %bb.208:                              ;   in Loop: Header=BB0_184 Depth=1
	v_mov_b32_e32 v28, 0
	v_mov_b32_e32 v29, 0xfff00000
	s_mov_b32 s2, exec_lo
	v_cmpx_ngt_f64_e32 0, v[24:25]
; %bb.209:                              ;   in Loop: Header=BB0_184 Depth=1
	v_div_scale_f64 v[4:5], null, v[22:23], v[22:23], v[24:25]
	s_delay_alu instid0(VALU_DEP_1) | instskip(SKIP_2) | instid1(VALU_DEP_1)
	v_rcp_f64_e32 v[6:7], v[4:5]
	s_waitcnt_depctr 0xfff
	v_fma_f64 v[26:27], -v[4:5], v[6:7], 1.0
	v_fma_f64 v[6:7], v[6:7], v[26:27], v[6:7]
	s_delay_alu instid0(VALU_DEP_1) | instskip(NEXT) | instid1(VALU_DEP_1)
	v_fma_f64 v[26:27], -v[4:5], v[6:7], 1.0
	v_fma_f64 v[6:7], v[6:7], v[26:27], v[6:7]
	v_div_scale_f64 v[26:27], vcc_lo, v[24:25], v[22:23], v[24:25]
	s_delay_alu instid0(VALU_DEP_1) | instskip(NEXT) | instid1(VALU_DEP_1)
	v_mul_f64 v[28:29], v[26:27], v[6:7]
	v_fma_f64 v[4:5], -v[4:5], v[28:29], v[26:27]
	s_delay_alu instid0(VALU_DEP_1) | instskip(NEXT) | instid1(VALU_DEP_1)
	v_div_fmas_f64 v[4:5], v[4:5], v[6:7], v[28:29]
	v_div_fixup_f64 v[28:29], v[4:5], v[22:23], v[24:25]
; %bb.210:                              ;   in Loop: Header=BB0_184 Depth=1
	s_or_b32 exec_lo, exec_lo, s2
	s_mov_b32 s2, 0
	s_mov_b32 s3, 0x7ff00000
.LBB0_211:                              ;   in Loop: Header=BB0_184 Depth=1
	s_or_saveexec_b32 s20, s20
	v_dual_mov_b32 v27, s3 :: v_dual_mov_b32 v26, s2
	s_xor_b32 exec_lo, exec_lo, s20
	s_cbranch_execz .LBB0_213
; %bb.212:                              ;   in Loop: Header=BB0_184 Depth=1
	v_div_scale_f64 v[4:5], null, v[22:23], v[22:23], v[20:21]
	s_delay_alu instid0(VALU_DEP_1) | instskip(SKIP_2) | instid1(VALU_DEP_1)
	v_rcp_f64_e32 v[6:7], v[4:5]
	s_waitcnt_depctr 0xfff
	v_fma_f64 v[26:27], -v[4:5], v[6:7], 1.0
	v_fma_f64 v[6:7], v[6:7], v[26:27], v[6:7]
	s_delay_alu instid0(VALU_DEP_1) | instskip(NEXT) | instid1(VALU_DEP_1)
	v_fma_f64 v[26:27], -v[4:5], v[6:7], 1.0
	v_fma_f64 v[6:7], v[6:7], v[26:27], v[6:7]
	v_div_scale_f64 v[26:27], vcc_lo, v[20:21], v[22:23], v[20:21]
	s_delay_alu instid0(VALU_DEP_1) | instskip(NEXT) | instid1(VALU_DEP_1)
	v_mul_f64 v[28:29], v[26:27], v[6:7]
	v_fma_f64 v[4:5], -v[4:5], v[28:29], v[26:27]
	s_delay_alu instid0(VALU_DEP_1) | instskip(SKIP_2) | instid1(VALU_DEP_3)
	v_div_fmas_f64 v[4:5], v[4:5], v[6:7], v[28:29]
	v_mov_b32_e32 v28, 0
	v_mov_b32_e32 v29, 0xfff00000
	v_div_fixup_f64 v[26:27], v[4:5], v[22:23], v[20:21]
.LBB0_213:                              ;   in Loop: Header=BB0_184 Depth=1
	s_or_b32 exec_lo, exec_lo, s20
.LBB0_214:                              ;   in Loop: Header=BB0_184 Depth=1
	s_delay_alu instid0(SALU_CYCLE_1)
	s_or_b32 exec_lo, exec_lo, s19
.LBB0_215:                              ;   in Loop: Header=BB0_184 Depth=1
	s_delay_alu instid0(SALU_CYCLE_1)
	s_or_b32 exec_lo, exec_lo, s17
	s_mov_b32 s17, 0
.LBB0_216:                              ;   in Loop: Header=BB0_184 Depth=1
	s_and_not1_saveexec_b32 s18, s18
	s_cbranch_execz .LBB0_238
; %bb.217:                              ;   in Loop: Header=BB0_184 Depth=1
	v_cmp_neq_f64_e32 vcc_lo, 0, v[24:25]
	v_cmp_neq_f64_e64 s2, 0, v[20:21]
                                        ; implicit-def: $vgpr28_vgpr29
                                        ; implicit-def: $vgpr26_vgpr27
                                        ; implicit-def: $sgpr19
	s_delay_alu instid0(VALU_DEP_1) | instskip(NEXT) | instid1(VALU_DEP_4)
	s_or_b32 s20, vcc_lo, s2
	s_and_saveexec_b32 s2, s1
	s_delay_alu instid0(SALU_CYCLE_1)
	s_xor_b32 s1, exec_lo, s2
	s_cbranch_execz .LBB0_227
; %bb.218:                              ;   in Loop: Header=BB0_184 Depth=1
	v_dual_mov_b32 v29, v25 :: v_dual_mov_b32 v28, v24
	v_dual_mov_b32 v27, v21 :: v_dual_mov_b32 v26, v20
	s_and_saveexec_b32 s19, s20
	s_cbranch_execz .LBB0_226
; %bb.219:                              ;   in Loop: Header=BB0_184 Depth=1
	s_mov_b32 s21, exec_lo
                                        ; implicit-def: $vgpr26_vgpr27
                                        ; implicit-def: $sgpr2_sgpr3
	v_cmpx_ngt_f64_e32 0, v[20:21]
	s_xor_b32 s21, exec_lo, s21
	s_cbranch_execz .LBB0_223
; %bb.220:                              ;   in Loop: Header=BB0_184 Depth=1
	v_mov_b32_e32 v26, 0
	v_mov_b32_e32 v27, 0x7ff00000
	s_mov_b32 s2, exec_lo
	v_cmpx_ngt_f64_e32 0, v[24:25]
; %bb.221:                              ;   in Loop: Header=BB0_184 Depth=1
	v_div_scale_f64 v[4:5], null, v[10:11], v[10:11], v[24:25]
	s_delay_alu instid0(VALU_DEP_1) | instskip(SKIP_2) | instid1(VALU_DEP_1)
	v_rcp_f64_e32 v[6:7], v[4:5]
	s_waitcnt_depctr 0xfff
	v_fma_f64 v[26:27], -v[4:5], v[6:7], 1.0
	v_fma_f64 v[6:7], v[6:7], v[26:27], v[6:7]
	s_delay_alu instid0(VALU_DEP_1) | instskip(NEXT) | instid1(VALU_DEP_1)
	v_fma_f64 v[26:27], -v[4:5], v[6:7], 1.0
	v_fma_f64 v[6:7], v[6:7], v[26:27], v[6:7]
	v_div_scale_f64 v[26:27], vcc_lo, v[24:25], v[10:11], v[24:25]
	s_delay_alu instid0(VALU_DEP_1) | instskip(NEXT) | instid1(VALU_DEP_1)
	v_mul_f64 v[28:29], v[26:27], v[6:7]
	v_fma_f64 v[4:5], -v[4:5], v[28:29], v[26:27]
	s_delay_alu instid0(VALU_DEP_1) | instskip(NEXT) | instid1(VALU_DEP_1)
	v_div_fmas_f64 v[4:5], v[4:5], v[6:7], v[28:29]
	v_div_fixup_f64 v[26:27], v[4:5], v[10:11], v[24:25]
; %bb.222:                              ;   in Loop: Header=BB0_184 Depth=1
	s_or_b32 exec_lo, exec_lo, s2
	s_mov_b32 s2, 0
	s_mov_b32 s3, 0xfff00000
.LBB0_223:                              ;   in Loop: Header=BB0_184 Depth=1
	s_or_saveexec_b32 s21, s21
	v_dual_mov_b32 v29, s3 :: v_dual_mov_b32 v28, s2
	s_xor_b32 exec_lo, exec_lo, s21
	s_cbranch_execz .LBB0_225
; %bb.224:                              ;   in Loop: Header=BB0_184 Depth=1
	v_div_scale_f64 v[4:5], null, v[10:11], v[10:11], v[20:21]
	s_delay_alu instid0(VALU_DEP_1) | instskip(SKIP_2) | instid1(VALU_DEP_1)
	v_rcp_f64_e32 v[6:7], v[4:5]
	s_waitcnt_depctr 0xfff
	v_fma_f64 v[26:27], -v[4:5], v[6:7], 1.0
	v_fma_f64 v[6:7], v[6:7], v[26:27], v[6:7]
	s_delay_alu instid0(VALU_DEP_1) | instskip(NEXT) | instid1(VALU_DEP_1)
	v_fma_f64 v[26:27], -v[4:5], v[6:7], 1.0
	v_fma_f64 v[6:7], v[6:7], v[26:27], v[6:7]
	v_div_scale_f64 v[26:27], vcc_lo, v[20:21], v[10:11], v[20:21]
	s_delay_alu instid0(VALU_DEP_1) | instskip(NEXT) | instid1(VALU_DEP_1)
	v_mul_f64 v[28:29], v[26:27], v[6:7]
	v_fma_f64 v[4:5], -v[4:5], v[28:29], v[26:27]
	v_mov_b32_e32 v26, 0
	v_mov_b32_e32 v27, 0x7ff00000
	s_delay_alu instid0(VALU_DEP_3) | instskip(NEXT) | instid1(VALU_DEP_1)
	v_div_fmas_f64 v[4:5], v[4:5], v[6:7], v[28:29]
	v_div_fixup_f64 v[28:29], v[4:5], v[10:11], v[20:21]
.LBB0_225:                              ;   in Loop: Header=BB0_184 Depth=1
	s_or_b32 exec_lo, exec_lo, s21
.LBB0_226:                              ;   in Loop: Header=BB0_184 Depth=1
	s_delay_alu instid0(SALU_CYCLE_1)
	s_or_b32 exec_lo, exec_lo, s19
	s_mov_b32 s19, 0
.LBB0_227:                              ;   in Loop: Header=BB0_184 Depth=1
	s_and_not1_saveexec_b32 s1, s1
	s_cbranch_execz .LBB0_237
; %bb.228:                              ;   in Loop: Header=BB0_184 Depth=1
	v_dual_mov_b32 v29, v25 :: v_dual_mov_b32 v28, v24
	v_dual_mov_b32 v27, v21 :: v_dual_mov_b32 v26, v20
	s_mov_b32 s2, 0
	s_and_saveexec_b32 s21, s20
	s_cbranch_execz .LBB0_236
; %bb.229:                              ;   in Loop: Header=BB0_184 Depth=1
	s_mov_b32 s22, exec_lo
                                        ; implicit-def: $sgpr20
                                        ; implicit-def: $vgpr26_vgpr27
                                        ; implicit-def: $sgpr2_sgpr3
	v_cmpx_ngt_f64_e32 0, v[20:21]
	s_xor_b32 s22, exec_lo, s22
	s_cbranch_execz .LBB0_233
; %bb.230:                              ;   in Loop: Header=BB0_184 Depth=1
	v_mov_b32_e32 v26, 0
	v_mov_b32_e32 v27, 0x7ff00000
	s_mov_b32 s20, 0
	s_mov_b32 s2, exec_lo
	v_cmpx_ngt_f64_e32 0, v[24:25]
	s_cbranch_execz .LBB0_232
; %bb.231:                              ;   in Loop: Header=BB0_184 Depth=1
	v_div_scale_f64 v[4:5], null, v[10:11], v[10:11], v[24:25]
	s_mov_b32 s20, exec_lo
	s_delay_alu instid0(VALU_DEP_1) | instskip(SKIP_2) | instid1(VALU_DEP_1)
	v_rcp_f64_e32 v[6:7], v[4:5]
	s_waitcnt_depctr 0xfff
	v_fma_f64 v[26:27], -v[4:5], v[6:7], 1.0
	v_fma_f64 v[6:7], v[6:7], v[26:27], v[6:7]
	s_delay_alu instid0(VALU_DEP_1) | instskip(NEXT) | instid1(VALU_DEP_1)
	v_fma_f64 v[26:27], -v[4:5], v[6:7], 1.0
	v_fma_f64 v[6:7], v[6:7], v[26:27], v[6:7]
	v_div_scale_f64 v[26:27], vcc_lo, v[24:25], v[10:11], v[24:25]
	s_delay_alu instid0(VALU_DEP_1) | instskip(NEXT) | instid1(VALU_DEP_1)
	v_mul_f64 v[28:29], v[26:27], v[6:7]
	v_fma_f64 v[4:5], -v[4:5], v[28:29], v[26:27]
	s_delay_alu instid0(VALU_DEP_1) | instskip(NEXT) | instid1(VALU_DEP_1)
	v_div_fmas_f64 v[4:5], v[4:5], v[6:7], v[28:29]
	v_div_fixup_f64 v[26:27], v[4:5], v[10:11], v[24:25]
.LBB0_232:                              ;   in Loop: Header=BB0_184 Depth=1
	s_or_b32 exec_lo, exec_lo, s2
	s_mov_b32 s2, 0
	s_mov_b32 s3, 0xfff00000
	s_and_b32 s20, s20, exec_lo
.LBB0_233:                              ;   in Loop: Header=BB0_184 Depth=1
	s_or_saveexec_b32 s22, s22
	v_dual_mov_b32 v29, s3 :: v_dual_mov_b32 v28, s2
	s_xor_b32 exec_lo, exec_lo, s22
	s_cbranch_execz .LBB0_235
; %bb.234:                              ;   in Loop: Header=BB0_184 Depth=1
	v_div_scale_f64 v[4:5], null, v[22:23], v[22:23], v[20:21]
	s_or_b32 s20, s20, exec_lo
	s_delay_alu instid0(VALU_DEP_1) | instskip(SKIP_2) | instid1(VALU_DEP_1)
	v_rcp_f64_e32 v[6:7], v[4:5]
	s_waitcnt_depctr 0xfff
	v_fma_f64 v[26:27], -v[4:5], v[6:7], 1.0
	v_fma_f64 v[6:7], v[6:7], v[26:27], v[6:7]
	s_delay_alu instid0(VALU_DEP_1) | instskip(NEXT) | instid1(VALU_DEP_1)
	v_fma_f64 v[26:27], -v[4:5], v[6:7], 1.0
	v_fma_f64 v[6:7], v[6:7], v[26:27], v[6:7]
	v_div_scale_f64 v[26:27], vcc_lo, v[20:21], v[22:23], v[20:21]
	s_delay_alu instid0(VALU_DEP_1) | instskip(NEXT) | instid1(VALU_DEP_1)
	v_mul_f64 v[28:29], v[26:27], v[6:7]
	v_fma_f64 v[4:5], -v[4:5], v[28:29], v[26:27]
	s_delay_alu instid0(VALU_DEP_1) | instskip(SKIP_2) | instid1(VALU_DEP_3)
	v_div_fmas_f64 v[4:5], v[4:5], v[6:7], v[28:29]
	v_mov_b32_e32 v28, 0
	v_mov_b32_e32 v29, 0xfff00000
	v_div_fixup_f64 v[26:27], v[4:5], v[22:23], v[20:21]
.LBB0_235:                              ;   in Loop: Header=BB0_184 Depth=1
	s_or_b32 exec_lo, exec_lo, s22
	s_delay_alu instid0(SALU_CYCLE_1)
	s_and_b32 s2, s20, exec_lo
.LBB0_236:                              ;   in Loop: Header=BB0_184 Depth=1
	s_or_b32 exec_lo, exec_lo, s21
	s_delay_alu instid0(SALU_CYCLE_1) | instskip(SKIP_1) | instid1(SALU_CYCLE_1)
	s_and_not1_b32 s3, s19, exec_lo
	s_and_b32 s2, s2, exec_lo
	s_or_b32 s19, s3, s2
.LBB0_237:                              ;   in Loop: Header=BB0_184 Depth=1
	s_or_b32 exec_lo, exec_lo, s1
	s_delay_alu instid0(SALU_CYCLE_1) | instskip(SKIP_1) | instid1(SALU_CYCLE_1)
	s_and_not1_b32 s1, s17, exec_lo
	s_and_b32 s2, s19, exec_lo
	s_or_b32 s17, s1, s2
.LBB0_238:                              ;   in Loop: Header=BB0_184 Depth=1
	s_or_b32 exec_lo, exec_lo, s18
	s_delay_alu instid0(SALU_CYCLE_1)
	s_and_b32 s2, s17, exec_lo
.LBB0_239:                              ;   in Loop: Header=BB0_184 Depth=1
	s_and_not1_saveexec_b32 s3, s16
	s_cbranch_execz .LBB0_245
; %bb.240:                              ;   in Loop: Header=BB0_184 Depth=1
	v_cmp_gt_f64_e32 vcc_lo, 0, v[22:23]
	v_dual_mov_b32 v6, v22 :: v_dual_mov_b32 v7, v23
	v_dual_mov_b32 v4, v10 :: v_dual_mov_b32 v5, v11
	s_mov_b32 s16, exec_lo
	v_cmpx_ngt_f64_e32 0, v[20:21]
	s_cbranch_execz .LBB0_244
; %bb.241:                              ;   in Loop: Header=BB0_184 Depth=1
	v_dual_mov_b32 v4, v22 :: v_dual_mov_b32 v5, v23
	v_dual_mov_b32 v6, v10 :: v_dual_mov_b32 v7, v11
	s_mov_b32 s17, exec_lo
	v_cmpx_gt_f64_e32 0, v[24:25]
; %bb.242:                              ;   in Loop: Header=BB0_184 Depth=1
	v_dual_cndmask_b32 v5, v11, v23 :: v_dual_cndmask_b32 v4, v10, v22
	s_delay_alu instid0(VALU_DEP_1)
	v_dual_mov_b32 v7, v5 :: v_dual_mov_b32 v6, v4
; %bb.243:                              ;   in Loop: Header=BB0_184 Depth=1
	s_or_b32 exec_lo, exec_lo, s17
.LBB0_244:                              ;   in Loop: Header=BB0_184 Depth=1
	s_delay_alu instid0(SALU_CYCLE_1) | instskip(SKIP_3) | instid1(VALU_DEP_2)
	s_or_b32 exec_lo, exec_lo, s16
	v_dual_cndmask_b32 v27, v25, v21 :: v_dual_cndmask_b32 v26, v24, v20
	v_dual_cndmask_b32 v37, v21, v25 :: v_dual_cndmask_b32 v36, v20, v24
	s_and_not1_b32 s2, s2, exec_lo
	v_div_scale_f64 v[28:29], null, v[4:5], v[4:5], v[26:27]
	s_delay_alu instid0(VALU_DEP_2) | instskip(SKIP_1) | instid1(VALU_DEP_3)
	v_div_scale_f64 v[38:39], null, v[6:7], v[6:7], v[36:37]
	v_div_scale_f64 v[48:49], vcc_lo, v[26:27], v[4:5], v[26:27]
	v_rcp_f64_e32 v[40:41], v[28:29]
	s_delay_alu instid0(VALU_DEP_2) | instskip(SKIP_3) | instid1(VALU_DEP_2)
	v_rcp_f64_e32 v[42:43], v[38:39]
	s_waitcnt_depctr 0xfff
	v_fma_f64 v[44:45], -v[28:29], v[40:41], 1.0
	v_fma_f64 v[46:47], -v[38:39], v[42:43], 1.0
	v_fma_f64 v[40:41], v[40:41], v[44:45], v[40:41]
	s_delay_alu instid0(VALU_DEP_2) | instskip(NEXT) | instid1(VALU_DEP_2)
	v_fma_f64 v[42:43], v[42:43], v[46:47], v[42:43]
	v_fma_f64 v[44:45], -v[28:29], v[40:41], 1.0
	s_delay_alu instid0(VALU_DEP_2) | instskip(NEXT) | instid1(VALU_DEP_2)
	v_fma_f64 v[46:47], -v[38:39], v[42:43], 1.0
	v_fma_f64 v[40:41], v[40:41], v[44:45], v[40:41]
	v_div_scale_f64 v[44:45], s1, v[36:37], v[6:7], v[36:37]
	s_delay_alu instid0(VALU_DEP_3) | instskip(NEXT) | instid1(VALU_DEP_3)
	v_fma_f64 v[42:43], v[42:43], v[46:47], v[42:43]
	v_mul_f64 v[46:47], v[48:49], v[40:41]
	s_delay_alu instid0(VALU_DEP_2) | instskip(NEXT) | instid1(VALU_DEP_2)
	v_mul_f64 v[50:51], v[44:45], v[42:43]
	v_fma_f64 v[28:29], -v[28:29], v[46:47], v[48:49]
	s_delay_alu instid0(VALU_DEP_2) | instskip(NEXT) | instid1(VALU_DEP_2)
	v_fma_f64 v[38:39], -v[38:39], v[50:51], v[44:45]
	v_div_fmas_f64 v[28:29], v[28:29], v[40:41], v[46:47]
	s_mov_b32 vcc_lo, s1
	s_delay_alu instid0(VALU_DEP_2) | instskip(NEXT) | instid1(VALU_DEP_2)
	v_div_fmas_f64 v[38:39], v[38:39], v[42:43], v[50:51]
	v_div_fixup_f64 v[28:29], v[28:29], v[4:5], v[26:27]
	s_delay_alu instid0(VALU_DEP_2)
	v_div_fixup_f64 v[26:27], v[38:39], v[6:7], v[36:37]
.LBB0_245:                              ;   in Loop: Header=BB0_184 Depth=1
	s_or_b32 exec_lo, exec_lo, s3
	v_mov_b32_e32 v6, s12
	v_mov_b32_e32 v7, s13
	s_delay_alu instid0(VALU_DEP_1)
	v_dual_mov_b32 v4, v6 :: v_dual_mov_b32 v5, v7
	s_and_saveexec_b32 s1, s2
	s_cbranch_execz .LBB0_251
; %bb.246:                              ;   in Loop: Header=BB0_184 Depth=1
	s_mov_b32 s3, exec_lo
                                        ; implicit-def: $vgpr4_vgpr5
	v_cmpx_ngt_f64_e32 0, v[20:21]
	s_xor_b32 s3, exec_lo, s3
; %bb.247:                              ;   in Loop: Header=BB0_184 Depth=1
	v_div_scale_f64 v[4:5], null, v[22:23], v[22:23], v[24:25]
	s_delay_alu instid0(VALU_DEP_1) | instskip(SKIP_2) | instid1(VALU_DEP_1)
	v_rcp_f64_e32 v[6:7], v[4:5]
	s_waitcnt_depctr 0xfff
	v_fma_f64 v[10:11], -v[4:5], v[6:7], 1.0
	v_fma_f64 v[6:7], v[6:7], v[10:11], v[6:7]
	s_delay_alu instid0(VALU_DEP_1) | instskip(NEXT) | instid1(VALU_DEP_1)
	v_fma_f64 v[10:11], -v[4:5], v[6:7], 1.0
	v_fma_f64 v[6:7], v[6:7], v[10:11], v[6:7]
	v_div_scale_f64 v[10:11], vcc_lo, v[24:25], v[22:23], v[24:25]
	s_delay_alu instid0(VALU_DEP_1) | instskip(NEXT) | instid1(VALU_DEP_1)
	v_mul_f64 v[20:21], v[10:11], v[6:7]
	v_fma_f64 v[4:5], -v[4:5], v[20:21], v[10:11]
                                        ; implicit-def: $vgpr10_vgpr11
	s_delay_alu instid0(VALU_DEP_1) | instskip(NEXT) | instid1(VALU_DEP_1)
	v_div_fmas_f64 v[4:5], v[4:5], v[6:7], v[20:21]
                                        ; implicit-def: $vgpr20_vgpr21
	v_div_fixup_f64 v[4:5], v[4:5], v[22:23], v[24:25]
; %bb.248:                              ;   in Loop: Header=BB0_184 Depth=1
	s_and_not1_saveexec_b32 s3, s3
; %bb.249:                              ;   in Loop: Header=BB0_184 Depth=1
	v_div_scale_f64 v[4:5], null, v[10:11], v[10:11], v[20:21]
	s_delay_alu instid0(VALU_DEP_1) | instskip(SKIP_2) | instid1(VALU_DEP_1)
	v_rcp_f64_e32 v[6:7], v[4:5]
	s_waitcnt_depctr 0xfff
	v_fma_f64 v[22:23], -v[4:5], v[6:7], 1.0
	v_fma_f64 v[6:7], v[6:7], v[22:23], v[6:7]
	s_delay_alu instid0(VALU_DEP_1) | instskip(NEXT) | instid1(VALU_DEP_1)
	v_fma_f64 v[22:23], -v[4:5], v[6:7], 1.0
	v_fma_f64 v[6:7], v[6:7], v[22:23], v[6:7]
	v_div_scale_f64 v[22:23], vcc_lo, v[20:21], v[10:11], v[20:21]
	s_delay_alu instid0(VALU_DEP_1) | instskip(NEXT) | instid1(VALU_DEP_1)
	v_mul_f64 v[24:25], v[22:23], v[6:7]
	v_fma_f64 v[4:5], -v[4:5], v[24:25], v[22:23]
	s_delay_alu instid0(VALU_DEP_1) | instskip(NEXT) | instid1(VALU_DEP_1)
	v_div_fmas_f64 v[4:5], v[4:5], v[6:7], v[24:25]
	v_div_fixup_f64 v[4:5], v[4:5], v[10:11], v[20:21]
; %bb.250:                              ;   in Loop: Header=BB0_184 Depth=1
	s_or_b32 exec_lo, exec_lo, s3
	v_add_f64 v[6:7], 0xfff00000, v[18:19]
	s_delay_alu instid0(VALU_DEP_2) | instskip(SKIP_2) | instid1(VALU_DEP_2)
	v_add_f64 v[4:5], v[18:19], -v[4:5]
	v_max_f64 v[10:11], v[0:1], v[0:1]
	v_max_f64 v[20:21], v[2:3], v[2:3]
	v_max_f64 v[6:7], v[6:7], v[10:11]
	s_delay_alu instid0(VALU_DEP_2) | instskip(NEXT) | instid1(VALU_DEP_1)
	v_min_f64 v[10:11], v[4:5], v[20:21]
	v_cmp_nle_f64_e32 vcc_lo, v[6:7], v[10:11]
	v_cndmask_b32_e64 v5, v7, 0x7ff80000, vcc_lo
	v_cndmask_b32_e64 v4, v6, 0, vcc_lo
	;; [unrolled: 1-line block ×4, first 2 shown]
.LBB0_251:                              ;   in Loop: Header=BB0_184 Depth=1
	s_or_b32 exec_lo, exec_lo, s1
	s_delay_alu instid0(VALU_DEP_4) | instskip(SKIP_3) | instid1(VALU_DEP_2)
	v_add_f64 v[10:11], v[18:19], -v[26:27]
	v_add_f64 v[20:21], v[18:19], -v[28:29]
	v_max_f64 v[22:23], v[0:1], v[0:1]
	v_max_f64 v[24:25], v[2:3], v[2:3]
	;; [unrolled: 1-line block ×3, first 2 shown]
	s_delay_alu instid0(VALU_DEP_2) | instskip(SKIP_1) | instid1(VALU_DEP_2)
	v_min_f64 v[20:21], v[20:21], v[24:25]
	v_mul_f64 v[22:23], v[8:9], s[10:11]
	v_cmp_nle_f64_e32 vcc_lo, v[10:11], v[20:21]
	s_delay_alu instid0(VALU_DEP_2) | instskip(NEXT) | instid1(VALU_DEP_3)
	v_cndmask_b32_e64 v23, v23, 0, s0
	v_cndmask_b32_e64 v22, v22, 0, s0
	v_cndmask_b32_e64 v9, v11, 0x7ff80000, vcc_lo
	v_cndmask_b32_e64 v8, v10, 0, vcc_lo
	v_cndmask_b32_e64 v11, v21, 0x7ff80000, vcc_lo
	v_cndmask_b32_e64 v10, v20, 0, vcc_lo
	s_delay_alu instid0(VALU_DEP_1) | instskip(SKIP_1) | instid1(VALU_DEP_2)
	v_add_f64 v[20:21], v[8:9], v[10:11]
	v_add_f64 v[24:25], v[10:11], -v[8:9]
	v_cmp_o_f64_e32 vcc_lo, v[20:21], v[20:21]
	s_delay_alu instid0(VALU_DEP_2) | instskip(NEXT) | instid1(VALU_DEP_1)
	v_cmp_gt_f64_e64 s0, v[24:25], v[22:23]
	s_and_b32 s1, vcc_lo, s0
                                        ; implicit-def: $sgpr0
	s_delay_alu instid0(SALU_CYCLE_1) | instskip(NEXT) | instid1(SALU_CYCLE_1)
	s_xor_b32 s16, s1, -1
	s_and_saveexec_b32 s3, s16
; %bb.252:                              ;   in Loop: Header=BB0_184 Depth=1
	v_add_f64 v[24:25], v[4:5], v[6:7]
	v_add_f64 v[26:27], v[6:7], -v[4:5]
	s_and_not1_b32 s1, s1, exec_lo
	s_delay_alu instid0(VALU_DEP_2) | instskip(NEXT) | instid1(VALU_DEP_2)
	v_cmp_o_f64_e32 vcc_lo, v[24:25], v[24:25]
	v_cmp_gt_f64_e64 s0, v[26:27], v[22:23]
	s_delay_alu instid0(VALU_DEP_1) | instskip(NEXT) | instid1(SALU_CYCLE_1)
	s_and_b32 s0, vcc_lo, s0
	s_and_b32 s16, s0, exec_lo
	s_and_b32 s0, s2, exec_lo
	s_or_b32 s1, s1, s16
; %bb.253:                              ;   in Loop: Header=BB0_184 Depth=1
	s_or_b32 exec_lo, exec_lo, s3
	s_and_saveexec_b32 s2, s1
; %bb.254:                              ;   in Loop: Header=BB0_184 Depth=1
	v_add_f64 v[20:21], v[0:1], v[18:19]
	v_dual_mov_b32 v4, v18 :: v_dual_mov_b32 v5, v19
	v_dual_mov_b32 v7, v3 :: v_dual_mov_b32 v6, v2
	;; [unrolled: 1-line block ×4, first 2 shown]
	s_or_b32 s0, s0, exec_lo
; %bb.255:                              ;   in Loop: Header=BB0_184 Depth=1
	s_or_b32 exec_lo, exec_lo, s2
	s_delay_alu instid0(SALU_CYCLE_1)
	s_mov_b32 s1, exec_lo
	v_cmpx_o_f64_e32 v[20:21], v[20:21]
	s_cbranch_execz .LBB0_257
; %bb.256:                              ;   in Loop: Header=BB0_184 Depth=1
	v_mov_b32_e32 v34, v33
	scratch_store_b128 v35, v[8:11], off
.LBB0_257:                              ;   in Loop: Header=BB0_184 Depth=1
	s_or_b32 exec_lo, exec_lo, s1
	v_add_f64 v[0:1], v[4:5], v[6:7]
	s_delay_alu instid0(VALU_DEP_1) | instskip(SKIP_1) | instid1(SALU_CYCLE_1)
	v_cmp_o_f64_e32 vcc_lo, v[0:1], v[0:1]
	s_and_b32 s1, vcc_lo, s0
	s_and_saveexec_b32 s0, s1
	s_cbranch_execz .LBB0_182
; %bb.258:                              ;   in Loop: Header=BB0_184 Depth=1
	v_add_nc_u32_e32 v0, 1, v34
	v_lshl_add_u32 v1, v34, 4, v30
	s_delay_alu instid0(VALU_DEP_2)
	v_mov_b32_e32 v34, v0
	scratch_store_b128 v1, v[4:7], off
	s_branch .LBB0_182
.LBB0_259:
	s_or_b32 exec_lo, exec_lo, s14
.LBB0_260:
	v_ashrrev_i32_e32 v0, 31, v31
	v_ashrrev_i32_e32 v13, 31, v12
	s_delay_alu instid0(VALU_DEP_2) | instskip(NEXT) | instid1(VALU_DEP_1)
	v_lshrrev_b32_e32 v0, 16, v0
	v_add_nc_u32_e32 v2, v31, v0
	s_delay_alu instid0(VALU_DEP_3) | instskip(NEXT) | instid1(VALU_DEP_2)
	v_lshlrev_b64 v[0:1], 2, v[12:13]
	v_ashrrev_i32_e32 v2, 16, v2
	s_delay_alu instid0(VALU_DEP_2) | instskip(NEXT) | instid1(VALU_DEP_3)
	v_add_co_u32 v0, vcc_lo, s6, v0
	v_add_co_ci_u32_e32 v1, vcc_lo, s7, v1, vcc_lo
	global_store_b32 v[0:1], v2, off
	s_endpgm
	.section	.rodata,"a",@progbits
	.p2align	6, 0x0
	.amdhsa_kernel _Z20test_interval_newtonIdEvP12interval_gpuIT_EPiS2_i
		.amdhsa_group_segment_fixed_size 0
		.amdhsa_private_segment_fixed_size 2064
		.amdhsa_kernarg_size 36
		.amdhsa_user_sgpr_count 15
		.amdhsa_user_sgpr_dispatch_ptr 0
		.amdhsa_user_sgpr_queue_ptr 0
		.amdhsa_user_sgpr_kernarg_segment_ptr 1
		.amdhsa_user_sgpr_dispatch_id 0
		.amdhsa_user_sgpr_private_segment_size 0
		.amdhsa_wavefront_size32 1
		.amdhsa_uses_dynamic_stack 0
		.amdhsa_enable_private_segment 1
		.amdhsa_system_sgpr_workgroup_id_x 1
		.amdhsa_system_sgpr_workgroup_id_y 0
		.amdhsa_system_sgpr_workgroup_id_z 0
		.amdhsa_system_sgpr_workgroup_info 0
		.amdhsa_system_vgpr_workitem_id 0
		.amdhsa_next_free_vgpr 52
		.amdhsa_next_free_sgpr 27
		.amdhsa_reserve_vcc 1
		.amdhsa_float_round_mode_32 0
		.amdhsa_float_round_mode_16_64 0
		.amdhsa_float_denorm_mode_32 3
		.amdhsa_float_denorm_mode_16_64 3
		.amdhsa_dx10_clamp 1
		.amdhsa_ieee_mode 1
		.amdhsa_fp16_overflow 0
		.amdhsa_workgroup_processor_mode 1
		.amdhsa_memory_ordered 1
		.amdhsa_forward_progress 0
		.amdhsa_shared_vgpr_count 0
		.amdhsa_exception_fp_ieee_invalid_op 0
		.amdhsa_exception_fp_denorm_src 0
		.amdhsa_exception_fp_ieee_div_zero 0
		.amdhsa_exception_fp_ieee_overflow 0
		.amdhsa_exception_fp_ieee_underflow 0
		.amdhsa_exception_fp_ieee_inexact 0
		.amdhsa_exception_int_div_zero 0
	.end_amdhsa_kernel
	.section	.text._Z20test_interval_newtonIdEvP12interval_gpuIT_EPiS2_i,"axG",@progbits,_Z20test_interval_newtonIdEvP12interval_gpuIT_EPiS2_i,comdat
.Lfunc_end0:
	.size	_Z20test_interval_newtonIdEvP12interval_gpuIT_EPiS2_i, .Lfunc_end0-_Z20test_interval_newtonIdEvP12interval_gpuIT_EPiS2_i
                                        ; -- End function
	.section	.AMDGPU.csdata,"",@progbits
; Kernel info:
; codeLenInByte = 10028
; NumSgprs: 29
; NumVgprs: 52
; ScratchSize: 2064
; MemoryBound: 0
; FloatMode: 240
; IeeeMode: 1
; LDSByteSize: 0 bytes/workgroup (compile time only)
; SGPRBlocks: 3
; VGPRBlocks: 6
; NumSGPRsForWavesPerEU: 29
; NumVGPRsForWavesPerEU: 52
; Occupancy: 16
; WaveLimiterHint : 0
; COMPUTE_PGM_RSRC2:SCRATCH_EN: 1
; COMPUTE_PGM_RSRC2:USER_SGPR: 15
; COMPUTE_PGM_RSRC2:TRAP_HANDLER: 0
; COMPUTE_PGM_RSRC2:TGID_X_EN: 1
; COMPUTE_PGM_RSRC2:TGID_Y_EN: 0
; COMPUTE_PGM_RSRC2:TGID_Z_EN: 0
; COMPUTE_PGM_RSRC2:TIDIG_COMP_CNT: 0
	.text
	.p2alignl 7, 3214868480
	.fill 96, 4, 3214868480
	.type	__hip_cuid_502179d42b70501f,@object ; @__hip_cuid_502179d42b70501f
	.section	.bss,"aw",@nobits
	.globl	__hip_cuid_502179d42b70501f
__hip_cuid_502179d42b70501f:
	.byte	0                               ; 0x0
	.size	__hip_cuid_502179d42b70501f, 1

	.ident	"AMD clang version 19.0.0git (https://github.com/RadeonOpenCompute/llvm-project roc-6.4.0 25133 c7fe45cf4b819c5991fe208aaa96edf142730f1d)"
	.section	".note.GNU-stack","",@progbits
	.addrsig
	.addrsig_sym __hip_cuid_502179d42b70501f
	.amdgpu_metadata
---
amdhsa.kernels:
  - .args:
      - .address_space:  global
        .offset:         0
        .size:           8
        .value_kind:     global_buffer
      - .address_space:  global
        .offset:         8
        .size:           8
        .value_kind:     global_buffer
      - .offset:         16
        .size:           16
        .value_kind:     by_value
      - .offset:         32
        .size:           4
        .value_kind:     by_value
    .group_segment_fixed_size: 0
    .kernarg_segment_align: 8
    .kernarg_segment_size: 36
    .language:       OpenCL C
    .language_version:
      - 2
      - 0
    .max_flat_workgroup_size: 1024
    .name:           _Z20test_interval_newtonIdEvP12interval_gpuIT_EPiS2_i
    .private_segment_fixed_size: 2064
    .sgpr_count:     29
    .sgpr_spill_count: 0
    .symbol:         _Z20test_interval_newtonIdEvP12interval_gpuIT_EPiS2_i.kd
    .uniform_work_group_size: 1
    .uses_dynamic_stack: false
    .vgpr_count:     52
    .vgpr_spill_count: 0
    .wavefront_size: 32
    .workgroup_processor_mode: 1
amdhsa.target:   amdgcn-amd-amdhsa--gfx1100
amdhsa.version:
  - 1
  - 2
...

	.end_amdgpu_metadata
